;; amdgpu-corpus repo=pytorch/pytorch kind=compiled arch=gfx1250 opt=O3
	.amdgcn_target "amdgcn-amd-amdhsa--gfx1250"
	.amdhsa_code_object_version 6
	.section	.text._ZN2at6native12_GLOBAL__N_128conv_depthwise3d_cuda_kernelIddLi3ELi3ELi3ELi1ELi1ELi1EEEvN5torch10headeronly6detail27GenericPackedTensorAccessorINS5_14TensorAccessorIN3c108ArrayRefIlEEKT_Lm4ENS4_16DefaultPtrTraitsEiEENS_6detail16IndexBoundsCheckILm5EiEESC_Lm5ESD_iEENS6_INS7_ISA_SB_Lm4ESD_iEESH_SB_Lm5ESD_iEESI_PSC_iiiiiiiii,"axG",@progbits,_ZN2at6native12_GLOBAL__N_128conv_depthwise3d_cuda_kernelIddLi3ELi3ELi3ELi1ELi1ELi1EEEvN5torch10headeronly6detail27GenericPackedTensorAccessorINS5_14TensorAccessorIN3c108ArrayRefIlEEKT_Lm4ENS4_16DefaultPtrTraitsEiEENS_6detail16IndexBoundsCheckILm5EiEESC_Lm5ESD_iEENS6_INS7_ISA_SB_Lm4ESD_iEESH_SB_Lm5ESD_iEESI_PSC_iiiiiiiii,comdat
	.globl	_ZN2at6native12_GLOBAL__N_128conv_depthwise3d_cuda_kernelIddLi3ELi3ELi3ELi1ELi1ELi1EEEvN5torch10headeronly6detail27GenericPackedTensorAccessorINS5_14TensorAccessorIN3c108ArrayRefIlEEKT_Lm4ENS4_16DefaultPtrTraitsEiEENS_6detail16IndexBoundsCheckILm5EiEESC_Lm5ESD_iEENS6_INS7_ISA_SB_Lm4ESD_iEESH_SB_Lm5ESD_iEESI_PSC_iiiiiiiii ; -- Begin function _ZN2at6native12_GLOBAL__N_128conv_depthwise3d_cuda_kernelIddLi3ELi3ELi3ELi1ELi1ELi1EEEvN5torch10headeronly6detail27GenericPackedTensorAccessorINS5_14TensorAccessorIN3c108ArrayRefIlEEKT_Lm4ENS4_16DefaultPtrTraitsEiEENS_6detail16IndexBoundsCheckILm5EiEESC_Lm5ESD_iEENS6_INS7_ISA_SB_Lm4ESD_iEESH_SB_Lm5ESD_iEESI_PSC_iiiiiiiii
	.p2align	8
	.type	_ZN2at6native12_GLOBAL__N_128conv_depthwise3d_cuda_kernelIddLi3ELi3ELi3ELi1ELi1ELi1EEEvN5torch10headeronly6detail27GenericPackedTensorAccessorINS5_14TensorAccessorIN3c108ArrayRefIlEEKT_Lm4ENS4_16DefaultPtrTraitsEiEENS_6detail16IndexBoundsCheckILm5EiEESC_Lm5ESD_iEENS6_INS7_ISA_SB_Lm4ESD_iEESH_SB_Lm5ESD_iEESI_PSC_iiiiiiiii,@function
_ZN2at6native12_GLOBAL__N_128conv_depthwise3d_cuda_kernelIddLi3ELi3ELi3ELi1ELi1ELi1EEEvN5torch10headeronly6detail27GenericPackedTensorAccessorINS5_14TensorAccessorIN3c108ArrayRefIlEEKT_Lm4ENS4_16DefaultPtrTraitsEiEENS_6detail16IndexBoundsCheckILm5EiEESC_Lm5ESD_iEENS6_INS7_ISA_SB_Lm4ESD_iEESH_SB_Lm5ESD_iEESI_PSC_iiiiiiiii: ; @_ZN2at6native12_GLOBAL__N_128conv_depthwise3d_cuda_kernelIddLi3ELi3ELi3ELi1ELi1ELi1EEEvN5torch10headeronly6detail27GenericPackedTensorAccessorINS5_14TensorAccessorIN3c108ArrayRefIlEEKT_Lm4ENS4_16DefaultPtrTraitsEiEENS_6detail16IndexBoundsCheckILm5EiEESC_Lm5ESD_iEENS6_INS7_ISA_SB_Lm4ESD_iEESH_SB_Lm5ESD_iEESI_PSC_iiiiiiiii
; %bb.0:
	s_clause 0x3
	s_load_b128 s[12:15], s[0:1], 0xc
	s_load_b32 s4, s[0:1], 0xcc
	s_load_b64 s[34:35], s[0:1], 0x48
	s_load_b128 s[16:19], s[0:1], 0x38
	s_bfe_u32 s2, ttmp6, 0x4000c
	s_and_b32 s3, ttmp6, 15
	s_add_co_i32 s2, s2, 1
	s_getreg_b32 s5, hwreg(HW_REG_IB_STS2, 6, 4)
	s_mul_i32 s2, ttmp9, s2
	s_mov_b32 s37, 0
	s_add_co_i32 s2, s3, s2
	v_mov_b32_e32 v1, 0
	s_mov_b32 s3, s37
	s_wait_kmcnt 0x0
	s_abs_i32 s6, s12
	s_cmp_eq_u32 s5, 0
	s_cvt_f32_u32 s7, s6
	s_cselect_b32 s2, ttmp9, s2
	s_and_b32 s4, s4, 0xffff
	s_mov_b32 s5, s37
	v_rcp_iflag_f32_e32 v4, s7
	s_mul_u64 s[38:39], s[4:5], s[2:3]
	s_mul_i32 s40, s35, s16
	v_add_nc_u64_e32 v[2:3], s[38:39], v[0:1]
	s_ashr_i32 s41, s40, 31
	s_mov_b32 s5, exec_lo
	s_delay_alu instid0(TRANS32_DEP_1) | instskip(NEXT) | instid1(VALU_DEP_2)
	v_readfirstlane_b32 s3, v4
	v_cmpx_gt_i64_e64 s[40:41], v[2:3]
	s_cbranch_execz .LBB0_59
; %bb.1:
	s_mul_f32 s3, s3, 0x4f7ffffe
	s_sub_co_i32 s5, 0, s6
	s_abs_i32 s42, s17
	s_mov_b32 s43, s37
	s_cvt_u32_f32 s3, s3
	s_clause 0x1
	s_load_b64 s[44:45], s[0:1], 0x90
	s_load_b32 s33, s[0:1], 0x7c
	s_ashr_i32 s16, s17, 31
	s_mul_i32 s5, s5, s3
	s_add_nc_u64 s[10:11], s[0:1], 0xc0
	s_mul_hi_u32 s5, s3, s5
	s_mov_b32 s46, s15
	s_add_co_i32 s36, s3, s5
	s_ashr_i32 s3, s12, 31
	s_mul_u64 s[8:9], s[42:43], s[36:37]
	s_xor_b32 s3, s16, s3
	s_mul_i32 s5, s9, s6
	s_add_co_i32 s7, s9, 1
	s_sub_co_i32 s5, s42, s5
	s_mov_b32 s59, s37
	s_sub_co_i32 s8, s5, s6
	s_cmp_ge_u32 s5, s6
	s_mov_b32 s61, s37
	s_cselect_b32 s7, s7, s9
	s_cselect_b32 s5, s8, s5
	s_add_co_i32 s8, s7, 1
	s_cmp_ge_u32 s5, s6
	s_mov_b32 s63, s37
	s_cselect_b32 s5, s8, s7
	s_add_co_i32 s6, s14, -3
	s_xor_b32 s5, s5, s3
	s_mul_i32 s48, s15, s6
	s_ashr_i32 s47, s15, 31
	s_sub_co_i32 s3, s5, s3
	s_ashr_i32 s49, s48, 31
	s_wait_kmcnt 0x0
	s_cmp_lg_u64 s[44:45], 0
	s_load_b32 s5, s[10:11], 0x0
	s_cselect_b32 s43, -1, 0
	s_abs_i32 s68, s34
	s_abs_i32 s69, s19
	s_cvt_f32_u32 s6, s68
	s_abs_i32 s71, s18
	s_clause 0x3
	s_load_b128 s[20:23], s[0:1], 0x98
	s_load_b64 s[50:51], s[0:1], 0xa8
	s_load_b64 s[52:53], s[0:1], 0x0
	s_load_b128 s[24:27], s[0:1], 0x1c
	v_rcp_iflag_f32_e32 v2, s6
	s_cvt_f32_u32 s6, s69
	s_clause 0x3
	s_load_b32 s70, s[0:1], 0x2c
	s_load_b64 s[54:55], s[0:1], 0x30
	s_load_b64 s[56:57], s[0:1], 0x60
	s_load_b128 s[28:31], s[0:1], 0x50
	s_sub_co_i32 s7, 0, s68
	v_rcp_iflag_f32_e32 v3, s6
	s_wait_xcnt 0x0
	s_cvt_f32_u32 s0, s42
	v_nop
	v_readfirstlane_b32 s6, v2
	s_abs_i32 s73, s3
	s_ashr_i32 s72, s34, 31
	s_ashr_i32 s74, s19, 31
	;; [unrolled: 1-line block ×3, first 2 shown]
	s_mul_f32 s1, s6, 0x4f7ffffe
	s_wait_kmcnt 0x0
	s_mul_i32 s36, s5, s4
	s_cvt_f32_u32 s5, s71
	v_readfirstlane_b32 s6, v3
	s_cvt_u32_f32 s1, s1
	s_mov_b32 s65, s37
	v_rcp_iflag_f32_e32 v2, s5
	s_ashr_i32 s76, s3, 31
	s_mul_i32 s7, s7, s1
	s_mul_f32 s5, s6, 0x4f7ffffe
	s_mul_hi_u32 s7, s1, s7
	s_sub_co_i32 s6, 0, s69
	s_add_co_i32 s58, s1, s7
	v_nop
	v_readfirstlane_b32 s1, v2
	v_rcp_iflag_f32_e32 v2, s0
	s_cvt_u32_f32 s5, s5
	s_mov_b32 s67, s37
	s_mul_i32 s77, s2, s4
	s_mul_f32 s0, s1, 0x4f7ffffe
	s_cvt_f32_u32 s1, s73
	s_mul_i32 s6, s6, s5
	s_mov_b32 s78, s37
	s_mul_hi_u32 s6, s5, s6
	v_rcp_iflag_f32_e32 v3, s1
	v_nop
	v_readfirstlane_b32 s1, v2
	s_cvt_u32_f32 s0, s0
	s_add_co_i32 s60, s5, s6
	s_sub_co_i32 s5, 0, s71
	s_delay_alu instid0(SALU_CYCLE_1)
	s_mul_i32 s5, s5, s0
	v_readfirstlane_b32 s6, v3
	s_mul_f32 s1, s1, 0x4f7ffffe
	s_mul_hi_u32 s5, s0, s5
	v_mov_b64_e32 v[2:3], v[0:1]
	s_add_co_i32 s62, s0, s5
	s_cvt_u32_f32 s0, s1
	s_mul_f32 s1, s6, 0x4f7ffffe
	s_sub_co_i32 s5, 0, s42
	s_sub_co_i32 s6, 0, s73
	s_mul_i32 s5, s5, s0
	s_cvt_u32_f32 s1, s1
	s_mul_hi_u32 s5, s0, s5
	s_delay_alu instid0(SALU_CYCLE_1) | instskip(NEXT) | instid1(SALU_CYCLE_1)
	s_add_co_i32 s64, s0, s5
	s_mul_i32 s6, s6, s1
	s_delay_alu instid0(SALU_CYCLE_1) | instskip(NEXT) | instid1(SALU_CYCLE_1)
	s_mul_hi_u32 s0, s1, s6
	s_add_co_i32 s66, s1, s0
	s_branch .LBB0_3
.LBB0_2:                                ;   in Loop: Header=BB0_3 Depth=1
	v_mul_lo_u32 v6, v11, s35
	v_mul_lo_u32 v8, s28, v10
	s_wait_xcnt 0x0
	v_mul_lo_u32 v10, s29, v13
	v_mul_lo_u32 v12, s30, v12
	v_add_nc_u64_e32 v[2:3], s[36:37], v[2:3]
	v_mul_lo_u32 v14, s31, v0
	v_dual_ashrrev_i32 v7, 31, v6 :: v_dual_ashrrev_i32 v9, 31, v8
	s_delay_alu instid0(VALU_DEP_4) | instskip(NEXT) | instid1(VALU_DEP_3)
	v_dual_ashrrev_i32 v11, 31, v10 :: v_dual_ashrrev_i32 v13, 31, v12
	v_ashrrev_i32_e32 v15, 31, v14
	s_delay_alu instid0(VALU_DEP_3) | instskip(NEXT) | instid1(VALU_DEP_1)
	v_lshl_add_u64 v[6:7], v[6:7], 3, s[54:55]
	v_lshl_add_u64 v[6:7], v[8:9], 3, v[6:7]
	v_add_nc_u64_e32 v[8:9], s[38:39], v[2:3]
	s_delay_alu instid0(VALU_DEP_2) | instskip(NEXT) | instid1(VALU_DEP_2)
	v_lshl_add_u64 v[6:7], v[10:11], 3, v[6:7]
	v_cmp_le_i64_e32 vcc_lo, s[40:41], v[8:9]
	s_delay_alu instid0(VALU_DEP_2) | instskip(SKIP_1) | instid1(VALU_DEP_1)
	v_lshl_add_u64 v[6:7], v[12:13], 3, v[6:7]
	s_or_b32 s78, vcc_lo, s78
	v_lshl_add_u64 v[6:7], v[14:15], 3, v[6:7]
	global_store_b64 v[6:7], v[4:5], off
	s_wait_xcnt 0x0
	s_and_not1_b32 exec_lo, exec_lo, s78
	s_cbranch_execz .LBB0_59
.LBB0_3:                                ; =>This Inner Loop Header: Depth=1
	v_add_nc_u32_e32 v6, s77, v2
	s_delay_alu instid0(VALU_DEP_1) | instskip(NEXT) | instid1(VALU_DEP_1)
	v_sub_nc_u32_e32 v0, 0, v6
	v_max_i32_e32 v0, v6, v0
	s_delay_alu instid0(VALU_DEP_1) | instskip(NEXT) | instid1(VALU_DEP_1)
	v_mul_u64_e32 v[4:5], s[58:59], v[0:1]
	v_mul_lo_u32 v4, v5, s68
	s_delay_alu instid0(VALU_DEP_1) | instskip(NEXT) | instid1(VALU_DEP_1)
	v_dual_sub_nc_u32 v0, v0, v4 :: v_dual_add_nc_u32 v4, 1, v5
	v_subrev_nc_u32_e32 v7, s68, v0
	v_cmp_le_u32_e32 vcc_lo, s68, v0
	s_delay_alu instid0(VALU_DEP_2) | instskip(NEXT) | instid1(VALU_DEP_1)
	v_dual_cndmask_b32 v4, v5, v4, vcc_lo :: v_dual_cndmask_b32 v0, v0, v7, vcc_lo
	v_dual_ashrrev_i32 v5, 31, v6 :: v_dual_add_nc_u32 v7, 1, v4
	s_delay_alu instid0(VALU_DEP_2) | instskip(NEXT) | instid1(VALU_DEP_2)
	v_cmp_le_u32_e32 vcc_lo, s68, v0
	v_dual_cndmask_b32 v0, v4, v7, vcc_lo :: v_dual_bitop2_b32 v5, s72, v5 bitop3:0x14
	s_delay_alu instid0(VALU_DEP_1) | instskip(NEXT) | instid1(VALU_DEP_1)
	v_xor_b32_e32 v0, v0, v5
	v_sub_nc_u32_e32 v7, v0, v5
	s_delay_alu instid0(VALU_DEP_1) | instskip(NEXT) | instid1(VALU_DEP_1)
	v_sub_nc_u32_e32 v0, 0, v7
	v_max_i32_e32 v0, v7, v0
	s_delay_alu instid0(VALU_DEP_1) | instskip(NEXT) | instid1(VALU_DEP_1)
	v_mul_u64_e32 v[4:5], s[60:61], v[0:1]
	v_mul_lo_u32 v4, v5, s69
	s_delay_alu instid0(VALU_DEP_1) | instskip(NEXT) | instid1(VALU_DEP_1)
	v_dual_sub_nc_u32 v0, v0, v4 :: v_dual_add_nc_u32 v4, 1, v5
	v_subrev_nc_u32_e32 v8, s69, v0
	v_cmp_le_u32_e32 vcc_lo, s69, v0
	s_delay_alu instid0(VALU_DEP_3) | instskip(NEXT) | instid1(VALU_DEP_1)
	v_dual_cndmask_b32 v4, v5, v4 :: v_dual_ashrrev_i32 v5, 31, v7
	v_dual_cndmask_b32 v0, v0, v8, vcc_lo :: v_dual_bitop2_b32 v5, s74, v5 bitop3:0x14
	s_delay_alu instid0(VALU_DEP_2) | instskip(NEXT) | instid1(VALU_DEP_2)
	v_add_nc_u32_e32 v8, 1, v4
	v_cmp_le_u32_e32 vcc_lo, s69, v0
	s_delay_alu instid0(VALU_DEP_2) | instskip(NEXT) | instid1(VALU_DEP_1)
	v_cndmask_b32_e32 v0, v4, v8, vcc_lo
	v_xor_b32_e32 v0, v0, v5
	s_delay_alu instid0(VALU_DEP_1) | instskip(NEXT) | instid1(VALU_DEP_1)
	v_sub_nc_u32_e32 v8, v0, v5
	v_sub_nc_u32_e32 v0, 0, v8
	s_delay_alu instid0(VALU_DEP_1) | instskip(NEXT) | instid1(VALU_DEP_1)
	v_max_i32_e32 v0, v8, v0
	v_mul_u64_e32 v[4:5], s[62:63], v[0:1]
	s_delay_alu instid0(VALU_DEP_1) | instskip(NEXT) | instid1(VALU_DEP_1)
	v_mul_lo_u32 v4, v5, s71
	v_dual_sub_nc_u32 v0, v0, v4 :: v_dual_add_nc_u32 v4, 1, v5
	s_delay_alu instid0(VALU_DEP_1) | instskip(SKIP_1) | instid1(VALU_DEP_2)
	v_subrev_nc_u32_e32 v9, s71, v0
	v_cmp_le_u32_e32 vcc_lo, s71, v0
	v_dual_cndmask_b32 v4, v5, v4, vcc_lo :: v_dual_cndmask_b32 v0, v0, v9, vcc_lo
	v_ashrrev_i32_e32 v5, 31, v8
	s_delay_alu instid0(VALU_DEP_2) | instskip(NEXT) | instid1(VALU_DEP_2)
	v_cmp_le_u32_e32 vcc_lo, s71, v0
	v_dual_add_nc_u32 v9, 1, v4 :: v_dual_bitop2_b32 v5, s75, v5 bitop3:0x14
	s_delay_alu instid0(VALU_DEP_1) | instskip(NEXT) | instid1(VALU_DEP_1)
	v_cndmask_b32_e32 v0, v4, v9, vcc_lo
	v_xor_b32_e32 v0, v0, v5
	s_delay_alu instid0(VALU_DEP_1) | instskip(NEXT) | instid1(VALU_DEP_1)
	v_sub_nc_u32_e32 v9, v0, v5
	v_sub_nc_u32_e32 v0, 0, v9
	s_delay_alu instid0(VALU_DEP_1) | instskip(NEXT) | instid1(VALU_DEP_1)
	v_max_i32_e32 v0, v9, v0
	v_mul_u64_e32 v[4:5], s[64:65], v[0:1]
	s_delay_alu instid0(VALU_DEP_1) | instskip(NEXT) | instid1(VALU_DEP_1)
	v_mul_lo_u32 v4, v5, s42
	v_dual_sub_nc_u32 v0, v0, v4 :: v_dual_add_nc_u32 v4, 1, v5
	s_delay_alu instid0(VALU_DEP_1) | instskip(SKIP_1) | instid1(VALU_DEP_2)
	v_subrev_nc_u32_e32 v10, s42, v0
	v_cmp_le_u32_e32 vcc_lo, s42, v0
	v_dual_cndmask_b32 v4, v5, v4, vcc_lo :: v_dual_cndmask_b32 v0, v0, v10, vcc_lo
	s_delay_alu instid0(VALU_DEP_1) | instskip(NEXT) | instid1(VALU_DEP_2)
	v_dual_ashrrev_i32 v5, 31, v9 :: v_dual_add_nc_u32 v10, 1, v4
	v_cmp_le_u32_e32 vcc_lo, s42, v0
	s_delay_alu instid0(VALU_DEP_2) | instskip(NEXT) | instid1(VALU_DEP_1)
	v_dual_cndmask_b32 v0, v4, v10, vcc_lo :: v_dual_bitop2_b32 v5, s16, v5 bitop3:0x14
	v_xor_b32_e32 v0, v0, v5
	s_delay_alu instid0(VALU_DEP_1) | instskip(NEXT) | instid1(VALU_DEP_1)
	v_sub_nc_u32_e32 v11, v0, v5
	v_mul_lo_u32 v0, v11, s17
	s_delay_alu instid0(VALU_DEP_1) | instskip(SKIP_1) | instid1(VALU_DEP_2)
	v_sub_nc_u32_e32 v10, v9, v0
	v_mul_lo_u32 v9, v9, s18
	v_dual_sub_nc_u32 v0, 0, v10 :: v_dual_ashrrev_i32 v14, 31, v10
	v_mul_lo_u32 v24, s33, v10
	s_delay_alu instid0(VALU_DEP_2) | instskip(NEXT) | instid1(VALU_DEP_1)
	v_max_i32_e32 v0, v10, v0
	v_mul_u64_e32 v[4:5], s[66:67], v[0:1]
	s_delay_alu instid0(VALU_DEP_3) | instskip(NEXT) | instid1(VALU_DEP_2)
	v_ashrrev_i32_e32 v25, 31, v24
	v_mul_lo_u32 v4, v5, s73
	s_delay_alu instid0(VALU_DEP_1) | instskip(SKIP_1) | instid1(VALU_DEP_2)
	v_dual_add_nc_u32 v12, 1, v5 :: v_dual_sub_nc_u32 v0, v0, v4
	v_mul_lo_u32 v4, v7, s34
	v_cmp_le_u32_e32 vcc_lo, s73, v0
	v_subrev_nc_u32_e32 v13, s73, v0
	s_delay_alu instid0(VALU_DEP_4) | instskip(SKIP_1) | instid1(VALU_DEP_3)
	v_cndmask_b32_e32 v5, v5, v12, vcc_lo
	v_mul_lo_u32 v12, v8, s19
	v_dual_cndmask_b32 v15, v0, v13 :: v_dual_sub_nc_u32 v0, v6, v4
	v_mul_lo_u32 v6, s24, v11
	s_delay_alu instid0(VALU_DEP_4) | instskip(NEXT) | instid1(VALU_DEP_3)
	v_dual_add_nc_u32 v16, 1, v5 :: v_dual_bitop2_b32 v4, s76, v14 bitop3:0x14
	v_cmp_le_u32_e32 vcc_lo, s73, v15
	v_sub_nc_u32_e32 v13, v8, v9
	v_mul_lo_u32 v9, v0, s22
	s_delay_alu instid0(VALU_DEP_4) | instskip(SKIP_1) | instid1(VALU_DEP_4)
	v_cndmask_b32_e32 v5, v5, v16, vcc_lo
	v_sub_nc_u32_e32 v12, v7, v12
	v_mul_lo_u32 v7, v13, s20
	s_delay_alu instid0(VALU_DEP_4) | instskip(NEXT) | instid1(VALU_DEP_2)
	v_subrev_nc_u32_e32 v16, s51, v9
	v_subrev_nc_u32_e32 v14, s23, v7
	v_ashrrev_i32_e32 v7, 31, v6
	v_mul_lo_u32 v15, v12, s21
	s_delay_alu instid0(VALU_DEP_4)
	v_mul_lo_u32 v20, s70, v16
	v_cmp_gt_i32_e32 vcc_lo, s15, v16
	v_mul_lo_u32 v18, s26, v14
	v_xor_b32_e32 v5, v5, v4
	v_lshl_add_u64 v[6:7], v[6:7], 3, s[52:53]
	v_cmp_gt_i32_e64 s11, s13, v14
	v_cmp_lt_i32_e64 s7, -1, v14
	v_cmp_lt_i32_e64 s2, -1, v16
	v_subrev_nc_u32_e32 v15, s50, v15
	v_dual_ashrrev_i32 v21, 31, v20 :: v_dual_ashrrev_i32 v19, 31, v18
	s_delay_alu instid0(VALU_DEP_2) | instskip(SKIP_3) | instid1(VALU_DEP_4)
	v_dual_sub_nc_u32 v4, v5, v4 :: v_dual_bitop2_b32 v17, v14, v15 bitop3:0x54
	v_mul_lo_u32 v22, s27, v15
	v_cmp_gt_i32_e64 s5, s14, v15
	v_cmp_lt_i32_e64 s8, -1, v15
	v_mul_lo_u32 v8, s25, v4
	v_mov_b64_e32 v[4:5], 0
	v_cmp_lt_i32_e64 s4, -1, v17
	s_delay_alu instid0(VALU_DEP_3) | instskip(NEXT) | instid1(VALU_DEP_1)
	v_dual_ashrrev_i32 v23, 31, v22 :: v_dual_ashrrev_i32 v9, 31, v8
	v_lshl_add_u64 v[6:7], v[8:9], 3, v[6:7]
	v_or_b32_e32 v8, v17, v16
	s_delay_alu instid0(VALU_DEP_2) | instskip(NEXT) | instid1(VALU_DEP_2)
	v_lshl_add_u64 v[6:7], v[18:19], 3, v[6:7]
	v_cmp_lt_i32_e64 s0, -1, v8
	s_delay_alu instid0(VALU_DEP_2) | instskip(SKIP_3) | instid1(VALU_DEP_2)
	v_lshl_add_u64 v[8:9], v[22:23], 3, v[6:7]
	s_and_b32 s0, s0, s11
	v_lshl_add_u64 v[6:7], v[24:25], 3, s[56:57]
	s_and_b32 s0, s0, s5
	v_lshl_add_u64 v[8:9], v[20:21], 3, v[8:9]
	s_and_b32 s1, s0, vcc_lo
	s_delay_alu instid0(SALU_CYCLE_1)
	s_and_saveexec_b32 s0, s1
	s_cbranch_execz .LBB0_5
; %bb.4:                                ;   in Loop: Header=BB0_3 Depth=1
	global_load_b64 v[4:5], v[6:7], off
	global_load_b64 v[18:19], v[8:9], off
	s_wait_loadcnt 0x0
	v_fma_f64 v[4:5], v[4:5], v[18:19], 0
.LBB0_5:                                ;   in Loop: Header=BB0_3 Depth=1
	s_wait_xcnt 0x0
	s_or_b32 exec_lo, exec_lo, s0
	v_cmp_lt_i32_e64 s0, -2, v16
	v_add_nc_u32_e32 v17, 1, v16
	s_and_b32 s3, s4, s0
	s_delay_alu instid0(VALU_DEP_1) | instskip(SKIP_1) | instid1(SALU_CYCLE_1)
	v_cmp_gt_i32_e64 s1, s15, v17
	s_and_b32 s3, s3, s11
	s_and_b32 s3, s3, s5
	s_delay_alu instid0(SALU_CYCLE_1) | instskip(NEXT) | instid1(SALU_CYCLE_1)
	s_and_b32 s6, s3, s1
	s_and_saveexec_b32 s3, s6
	s_cbranch_execz .LBB0_7
; %bb.6:                                ;   in Loop: Header=BB0_3 Depth=1
	global_load_b64 v[18:19], v[6:7], off offset:8
	global_load_b64 v[20:21], v[8:9], off offset:8
	s_wait_loadcnt 0x0
	v_fmac_f64_e32 v[4:5], v[18:19], v[20:21]
.LBB0_7:                                ;   in Loop: Header=BB0_3 Depth=1
	s_wait_xcnt 0x0
	s_or_b32 exec_lo, exec_lo, s3
	v_cmp_lt_i32_e64 s3, -3, v16
	v_add_nc_u32_e32 v16, 2, v16
	s_and_b32 s6, s4, s3
	s_delay_alu instid0(VALU_DEP_1) | instskip(SKIP_1) | instid1(SALU_CYCLE_1)
	v_cmp_gt_i32_e64 s4, s15, v16
	s_and_b32 s6, s6, s11
	s_and_b32 s6, s6, s5
	s_delay_alu instid0(SALU_CYCLE_1) | instskip(NEXT) | instid1(SALU_CYCLE_1)
	s_and_b32 s9, s6, s4
	s_and_saveexec_b32 s6, s9
	s_cbranch_execz .LBB0_9
; %bb.8:                                ;   in Loop: Header=BB0_3 Depth=1
	global_load_b64 v[16:17], v[6:7], off offset:16
	global_load_b64 v[18:19], v[8:9], off offset:16
	s_wait_loadcnt 0x0
	v_fmac_f64_e32 v[4:5], v[16:17], v[18:19]
.LBB0_9:                                ;   in Loop: Header=BB0_3 Depth=1
	s_wait_xcnt 0x0
	s_or_b32 exec_lo, exec_lo, s6
	v_cmp_lt_i32_e64 s9, -2, v15
	v_add_nc_u32_e32 v16, 1, v15
	v_lshl_add_u64 v[8:9], s[46:47], 3, v[8:9]
	s_and_b32 s10, s7, s9
	s_delay_alu instid0(VALU_DEP_2) | instskip(SKIP_1) | instid1(SALU_CYCLE_1)
	v_cmp_gt_i32_e64 s6, s14, v16
	s_and_b32 s12, s10, s2
	s_and_b32 s12, s12, s11
	s_delay_alu instid0(SALU_CYCLE_1) | instskip(NEXT) | instid1(SALU_CYCLE_1)
	s_and_b32 s12, s12, s6
	s_and_b32 s79, s12, vcc_lo
	s_delay_alu instid0(SALU_CYCLE_1)
	s_and_saveexec_b32 s12, s79
	s_cbranch_execz .LBB0_11
; %bb.10:                               ;   in Loop: Header=BB0_3 Depth=1
	global_load_b64 v[16:17], v[6:7], off offset:24
	global_load_b64 v[18:19], v[8:9], off
	s_wait_loadcnt 0x0
	v_fmac_f64_e32 v[4:5], v[16:17], v[18:19]
.LBB0_11:                               ;   in Loop: Header=BB0_3 Depth=1
	s_wait_xcnt 0x0
	s_or_b32 exec_lo, exec_lo, s12
	s_and_b32 s12, s10, s0
	s_delay_alu instid0(SALU_CYCLE_1) | instskip(NEXT) | instid1(SALU_CYCLE_1)
	s_and_b32 s12, s12, s11
	s_and_b32 s12, s12, s6
	s_delay_alu instid0(SALU_CYCLE_1) | instskip(NEXT) | instid1(SALU_CYCLE_1)
	s_and_b32 s79, s12, s1
	s_and_saveexec_b32 s12, s79
	s_cbranch_execz .LBB0_13
; %bb.12:                               ;   in Loop: Header=BB0_3 Depth=1
	global_load_b64 v[16:17], v[6:7], off offset:32
	global_load_b64 v[18:19], v[8:9], off offset:8
	s_wait_loadcnt 0x0
	v_fmac_f64_e32 v[4:5], v[16:17], v[18:19]
.LBB0_13:                               ;   in Loop: Header=BB0_3 Depth=1
	s_wait_xcnt 0x0
	s_or_b32 exec_lo, exec_lo, s12
	s_and_b32 s10, s10, s3
	s_delay_alu instid0(SALU_CYCLE_1) | instskip(NEXT) | instid1(SALU_CYCLE_1)
	s_and_b32 s10, s10, s11
	s_and_b32 s10, s10, s6
	s_delay_alu instid0(SALU_CYCLE_1) | instskip(NEXT) | instid1(SALU_CYCLE_1)
	s_and_b32 s12, s10, s4
	s_and_saveexec_b32 s10, s12
	s_cbranch_execz .LBB0_15
; %bb.14:                               ;   in Loop: Header=BB0_3 Depth=1
	global_load_b64 v[16:17], v[6:7], off offset:40
	global_load_b64 v[18:19], v[8:9], off offset:16
	s_wait_loadcnt 0x0
	v_fmac_f64_e32 v[4:5], v[16:17], v[18:19]
.LBB0_15:                               ;   in Loop: Header=BB0_3 Depth=1
	s_wait_xcnt 0x0
	s_or_b32 exec_lo, exec_lo, s10
	v_cmp_lt_i32_e64 s10, -3, v15
	v_add_nc_u32_e32 v15, 2, v15
	v_lshl_add_u64 v[8:9], s[46:47], 3, v[8:9]
	s_and_b32 s12, s7, s10
	s_delay_alu instid0(VALU_DEP_2) | instskip(SKIP_1) | instid1(SALU_CYCLE_1)
	v_cmp_gt_i32_e64 s7, s14, v15
	s_and_b32 s79, s12, s2
	s_and_b32 s79, s79, s11
	s_delay_alu instid0(SALU_CYCLE_1) | instskip(NEXT) | instid1(SALU_CYCLE_1)
	s_and_b32 s79, s79, s7
	s_and_b32 s80, s79, vcc_lo
	s_delay_alu instid0(SALU_CYCLE_1)
	s_and_saveexec_b32 s79, s80
	s_cbranch_execz .LBB0_17
; %bb.16:                               ;   in Loop: Header=BB0_3 Depth=1
	global_load_b64 v[16:17], v[6:7], off offset:48
	global_load_b64 v[18:19], v[8:9], off
	s_wait_loadcnt 0x0
	v_fmac_f64_e32 v[4:5], v[16:17], v[18:19]
.LBB0_17:                               ;   in Loop: Header=BB0_3 Depth=1
	s_wait_xcnt 0x0
	s_or_b32 exec_lo, exec_lo, s79
	s_and_b32 s79, s12, s0
	s_delay_alu instid0(SALU_CYCLE_1) | instskip(NEXT) | instid1(SALU_CYCLE_1)
	s_and_b32 s79, s79, s11
	s_and_b32 s79, s79, s7
	s_delay_alu instid0(SALU_CYCLE_1) | instskip(NEXT) | instid1(SALU_CYCLE_1)
	s_and_b32 s80, s79, s1
	s_and_saveexec_b32 s79, s80
	s_cbranch_execz .LBB0_19
; %bb.18:                               ;   in Loop: Header=BB0_3 Depth=1
	global_load_b64 v[16:17], v[6:7], off offset:56
	global_load_b64 v[18:19], v[8:9], off offset:8
	s_wait_loadcnt 0x0
	v_fmac_f64_e32 v[4:5], v[16:17], v[18:19]
.LBB0_19:                               ;   in Loop: Header=BB0_3 Depth=1
	s_wait_xcnt 0x0
	s_or_b32 exec_lo, exec_lo, s79
	s_and_b32 s12, s12, s3
	s_delay_alu instid0(SALU_CYCLE_1) | instskip(NEXT) | instid1(SALU_CYCLE_1)
	s_and_b32 s11, s12, s11
	s_and_b32 s11, s11, s7
	s_delay_alu instid0(SALU_CYCLE_1) | instskip(NEXT) | instid1(SALU_CYCLE_1)
	s_and_b32 s12, s11, s4
	s_and_saveexec_b32 s11, s12
	s_cbranch_execz .LBB0_21
; %bb.20:                               ;   in Loop: Header=BB0_3 Depth=1
	global_load_b64 v[16:17], v[6:7], off offset:64
	global_load_b64 v[18:19], v[8:9], off offset:16
	s_wait_loadcnt 0x0
	v_fmac_f64_e32 v[4:5], v[16:17], v[18:19]
.LBB0_21:                               ;   in Loop: Header=BB0_3 Depth=1
	s_wait_xcnt 0x0
	s_or_b32 exec_lo, exec_lo, s11
	v_add_nc_u32_e32 v15, 1, v14
	v_cmp_lt_i32_e64 s12, -2, v14
	v_lshl_add_u64 v[8:9], s[46:47], 3, v[8:9]
	s_delay_alu instid0(VALU_DEP_3) | instskip(SKIP_3) | instid1(SALU_CYCLE_1)
	v_cmp_gt_i32_e64 s11, s13, v15
	s_and_b32 s79, s12, s8
	v_lshl_add_u64 v[8:9], s[48:49], 3, v[8:9]
	s_and_b32 s80, s79, s2
	s_and_b32 s80, s80, s11
	s_delay_alu instid0(SALU_CYCLE_1) | instskip(NEXT) | instid1(SALU_CYCLE_1)
	s_and_b32 s80, s80, s5
	s_and_b32 s81, s80, vcc_lo
	s_delay_alu instid0(SALU_CYCLE_1)
	s_and_saveexec_b32 s80, s81
	s_cbranch_execz .LBB0_23
; %bb.22:                               ;   in Loop: Header=BB0_3 Depth=1
	global_load_b64 v[16:17], v[6:7], off offset:72
	global_load_b64 v[18:19], v[8:9], off
	s_wait_loadcnt 0x0
	v_fmac_f64_e32 v[4:5], v[16:17], v[18:19]
.LBB0_23:                               ;   in Loop: Header=BB0_3 Depth=1
	s_wait_xcnt 0x0
	s_or_b32 exec_lo, exec_lo, s80
	s_and_b32 s80, s79, s0
	s_delay_alu instid0(SALU_CYCLE_1) | instskip(NEXT) | instid1(SALU_CYCLE_1)
	s_and_b32 s80, s80, s11
	s_and_b32 s80, s80, s5
	s_delay_alu instid0(SALU_CYCLE_1) | instskip(NEXT) | instid1(SALU_CYCLE_1)
	s_and_b32 s81, s80, s1
	s_and_saveexec_b32 s80, s81
	s_cbranch_execz .LBB0_25
; %bb.24:                               ;   in Loop: Header=BB0_3 Depth=1
	global_load_b64 v[16:17], v[6:7], off offset:80
	global_load_b64 v[18:19], v[8:9], off offset:8
	s_wait_loadcnt 0x0
	v_fmac_f64_e32 v[4:5], v[16:17], v[18:19]
.LBB0_25:                               ;   in Loop: Header=BB0_3 Depth=1
	s_wait_xcnt 0x0
	s_or_b32 exec_lo, exec_lo, s80
	s_and_b32 s79, s79, s3
	s_delay_alu instid0(SALU_CYCLE_1) | instskip(NEXT) | instid1(SALU_CYCLE_1)
	s_and_b32 s79, s79, s11
	s_and_b32 s79, s79, s5
	s_delay_alu instid0(SALU_CYCLE_1) | instskip(NEXT) | instid1(SALU_CYCLE_1)
	s_and_b32 s80, s79, s4
	s_and_saveexec_b32 s79, s80
	s_cbranch_execz .LBB0_27
; %bb.26:                               ;   in Loop: Header=BB0_3 Depth=1
	global_load_b64 v[16:17], v[6:7], off offset:88
	global_load_b64 v[18:19], v[8:9], off offset:16
	s_wait_loadcnt 0x0
	v_fmac_f64_e32 v[4:5], v[16:17], v[18:19]
.LBB0_27:                               ;   in Loop: Header=BB0_3 Depth=1
	s_wait_xcnt 0x0
	s_or_b32 exec_lo, exec_lo, s79
	s_and_b32 s79, s12, s9
	v_lshl_add_u64 v[8:9], s[46:47], 3, v[8:9]
	s_and_b32 s80, s79, s2
	s_delay_alu instid0(SALU_CYCLE_1) | instskip(NEXT) | instid1(SALU_CYCLE_1)
	s_and_b32 s80, s80, s11
	s_and_b32 s80, s80, s6
	s_delay_alu instid0(SALU_CYCLE_1) | instskip(NEXT) | instid1(SALU_CYCLE_1)
	s_and_b32 s81, s80, vcc_lo
	s_and_saveexec_b32 s80, s81
	s_cbranch_execz .LBB0_29
; %bb.28:                               ;   in Loop: Header=BB0_3 Depth=1
	global_load_b64 v[16:17], v[6:7], off offset:96
	global_load_b64 v[18:19], v[8:9], off
	s_wait_loadcnt 0x0
	v_fmac_f64_e32 v[4:5], v[16:17], v[18:19]
.LBB0_29:                               ;   in Loop: Header=BB0_3 Depth=1
	s_wait_xcnt 0x0
	s_or_b32 exec_lo, exec_lo, s80
	s_and_b32 s80, s79, s0
	s_delay_alu instid0(SALU_CYCLE_1) | instskip(NEXT) | instid1(SALU_CYCLE_1)
	s_and_b32 s80, s80, s11
	s_and_b32 s80, s80, s6
	s_delay_alu instid0(SALU_CYCLE_1) | instskip(NEXT) | instid1(SALU_CYCLE_1)
	s_and_b32 s81, s80, s1
	s_and_saveexec_b32 s80, s81
	s_cbranch_execz .LBB0_31
; %bb.30:                               ;   in Loop: Header=BB0_3 Depth=1
	global_load_b64 v[16:17], v[6:7], off offset:104
	global_load_b64 v[18:19], v[8:9], off offset:8
	s_wait_loadcnt 0x0
	v_fmac_f64_e32 v[4:5], v[16:17], v[18:19]
.LBB0_31:                               ;   in Loop: Header=BB0_3 Depth=1
	s_wait_xcnt 0x0
	s_or_b32 exec_lo, exec_lo, s80
	s_and_b32 s79, s79, s3
	s_delay_alu instid0(SALU_CYCLE_1) | instskip(NEXT) | instid1(SALU_CYCLE_1)
	s_and_b32 s79, s79, s11
	s_and_b32 s79, s79, s6
	s_delay_alu instid0(SALU_CYCLE_1) | instskip(NEXT) | instid1(SALU_CYCLE_1)
	s_and_b32 s80, s79, s4
	s_and_saveexec_b32 s79, s80
	s_cbranch_execz .LBB0_33
; %bb.32:                               ;   in Loop: Header=BB0_3 Depth=1
	global_load_b64 v[16:17], v[6:7], off offset:112
	global_load_b64 v[18:19], v[8:9], off offset:16
	s_wait_loadcnt 0x0
	v_fmac_f64_e32 v[4:5], v[16:17], v[18:19]
.LBB0_33:                               ;   in Loop: Header=BB0_3 Depth=1
	s_wait_xcnt 0x0
	s_or_b32 exec_lo, exec_lo, s79
	s_and_b32 s12, s12, s10
	v_lshl_add_u64 v[8:9], s[46:47], 3, v[8:9]
	s_and_b32 s79, s12, s2
	s_delay_alu instid0(SALU_CYCLE_1) | instskip(NEXT) | instid1(SALU_CYCLE_1)
	s_and_b32 s79, s79, s11
	s_and_b32 s79, s79, s7
	s_delay_alu instid0(SALU_CYCLE_1) | instskip(NEXT) | instid1(SALU_CYCLE_1)
	s_and_b32 s80, s79, vcc_lo
	s_and_saveexec_b32 s79, s80
	s_cbranch_execz .LBB0_35
; %bb.34:                               ;   in Loop: Header=BB0_3 Depth=1
	global_load_b64 v[16:17], v[6:7], off offset:120
	global_load_b64 v[18:19], v[8:9], off
	s_wait_loadcnt 0x0
	v_fmac_f64_e32 v[4:5], v[16:17], v[18:19]
.LBB0_35:                               ;   in Loop: Header=BB0_3 Depth=1
	s_wait_xcnt 0x0
	s_or_b32 exec_lo, exec_lo, s79
	s_and_b32 s79, s12, s0
	s_delay_alu instid0(SALU_CYCLE_1) | instskip(NEXT) | instid1(SALU_CYCLE_1)
	s_and_b32 s79, s79, s11
	s_and_b32 s79, s79, s7
	s_delay_alu instid0(SALU_CYCLE_1) | instskip(NEXT) | instid1(SALU_CYCLE_1)
	s_and_b32 s80, s79, s1
	s_and_saveexec_b32 s79, s80
	s_cbranch_execz .LBB0_37
; %bb.36:                               ;   in Loop: Header=BB0_3 Depth=1
	global_load_b64 v[16:17], v[6:7], off offset:128
	global_load_b64 v[18:19], v[8:9], off offset:8
	s_wait_loadcnt 0x0
	v_fmac_f64_e32 v[4:5], v[16:17], v[18:19]
.LBB0_37:                               ;   in Loop: Header=BB0_3 Depth=1
	s_wait_xcnt 0x0
	s_or_b32 exec_lo, exec_lo, s79
	s_and_b32 s12, s12, s3
	s_delay_alu instid0(SALU_CYCLE_1) | instskip(NEXT) | instid1(SALU_CYCLE_1)
	s_and_b32 s11, s12, s11
	s_and_b32 s11, s11, s7
	s_delay_alu instid0(SALU_CYCLE_1) | instskip(NEXT) | instid1(SALU_CYCLE_1)
	s_and_b32 s12, s11, s4
	s_and_saveexec_b32 s11, s12
	s_cbranch_execz .LBB0_39
; %bb.38:                               ;   in Loop: Header=BB0_3 Depth=1
	global_load_b64 v[16:17], v[6:7], off offset:136
	global_load_b64 v[18:19], v[8:9], off offset:16
	s_wait_loadcnt 0x0
	v_fmac_f64_e32 v[4:5], v[16:17], v[18:19]
.LBB0_39:                               ;   in Loop: Header=BB0_3 Depth=1
	s_wait_xcnt 0x0
	s_or_b32 exec_lo, exec_lo, s11
	v_add_nc_u32_e32 v15, 2, v14
	v_cmp_lt_i32_e64 s12, -3, v14
	v_lshl_add_u64 v[8:9], s[46:47], 3, v[8:9]
	s_delay_alu instid0(VALU_DEP_3) | instskip(SKIP_3) | instid1(SALU_CYCLE_1)
	v_cmp_gt_i32_e64 s11, s13, v15
	s_and_b32 s8, s12, s8
	v_lshl_add_u64 v[8:9], s[48:49], 3, v[8:9]
	s_and_b32 s79, s8, s2
	s_and_b32 s79, s79, s11
	s_delay_alu instid0(SALU_CYCLE_1) | instskip(NEXT) | instid1(SALU_CYCLE_1)
	s_and_b32 s79, s79, s5
	s_and_b32 s80, s79, vcc_lo
	s_delay_alu instid0(SALU_CYCLE_1)
	s_and_saveexec_b32 s79, s80
	s_cbranch_execz .LBB0_41
; %bb.40:                               ;   in Loop: Header=BB0_3 Depth=1
	global_load_b64 v[14:15], v[6:7], off offset:144
	global_load_b64 v[16:17], v[8:9], off
	s_wait_loadcnt 0x0
	v_fmac_f64_e32 v[4:5], v[14:15], v[16:17]
.LBB0_41:                               ;   in Loop: Header=BB0_3 Depth=1
	s_wait_xcnt 0x0
	s_or_b32 exec_lo, exec_lo, s79
	s_and_b32 s79, s8, s0
	s_delay_alu instid0(SALU_CYCLE_1) | instskip(NEXT) | instid1(SALU_CYCLE_1)
	s_and_b32 s79, s79, s11
	s_and_b32 s79, s79, s5
	s_delay_alu instid0(SALU_CYCLE_1) | instskip(NEXT) | instid1(SALU_CYCLE_1)
	s_and_b32 s80, s79, s1
	s_and_saveexec_b32 s79, s80
	s_cbranch_execz .LBB0_43
; %bb.42:                               ;   in Loop: Header=BB0_3 Depth=1
	global_load_b64 v[14:15], v[6:7], off offset:152
	global_load_b64 v[16:17], v[8:9], off offset:8
	s_wait_loadcnt 0x0
	v_fmac_f64_e32 v[4:5], v[14:15], v[16:17]
.LBB0_43:                               ;   in Loop: Header=BB0_3 Depth=1
	s_wait_xcnt 0x0
	s_or_b32 exec_lo, exec_lo, s79
	s_and_b32 s8, s8, s3
	s_delay_alu instid0(SALU_CYCLE_1) | instskip(NEXT) | instid1(SALU_CYCLE_1)
	s_and_b32 s8, s8, s11
	s_and_b32 s5, s8, s5
	s_delay_alu instid0(SALU_CYCLE_1) | instskip(NEXT) | instid1(SALU_CYCLE_1)
	s_and_b32 s8, s5, s4
	s_and_saveexec_b32 s5, s8
	s_cbranch_execz .LBB0_45
; %bb.44:                               ;   in Loop: Header=BB0_3 Depth=1
	global_load_b64 v[14:15], v[6:7], off offset:160
	global_load_b64 v[16:17], v[8:9], off offset:16
	s_wait_loadcnt 0x0
	v_fmac_f64_e32 v[4:5], v[14:15], v[16:17]
.LBB0_45:                               ;   in Loop: Header=BB0_3 Depth=1
	s_wait_xcnt 0x0
	s_or_b32 exec_lo, exec_lo, s5
	s_and_b32 s5, s12, s9
	v_lshl_add_u64 v[8:9], s[46:47], 3, v[8:9]
	s_and_b32 s8, s5, s2
	s_delay_alu instid0(SALU_CYCLE_1) | instskip(NEXT) | instid1(SALU_CYCLE_1)
	s_and_b32 s8, s8, s11
	s_and_b32 s8, s8, s6
	s_delay_alu instid0(SALU_CYCLE_1) | instskip(NEXT) | instid1(SALU_CYCLE_1)
	s_and_b32 s9, s8, vcc_lo
	s_and_saveexec_b32 s8, s9
	s_cbranch_execz .LBB0_47
; %bb.46:                               ;   in Loop: Header=BB0_3 Depth=1
	global_load_b64 v[14:15], v[6:7], off offset:168
	global_load_b64 v[16:17], v[8:9], off
	s_wait_loadcnt 0x0
	v_fmac_f64_e32 v[4:5], v[14:15], v[16:17]
.LBB0_47:                               ;   in Loop: Header=BB0_3 Depth=1
	s_wait_xcnt 0x0
	s_or_b32 exec_lo, exec_lo, s8
	s_and_b32 s8, s5, s0
	s_delay_alu instid0(SALU_CYCLE_1) | instskip(NEXT) | instid1(SALU_CYCLE_1)
	s_and_b32 s8, s8, s11
	s_and_b32 s8, s8, s6
	s_delay_alu instid0(SALU_CYCLE_1) | instskip(NEXT) | instid1(SALU_CYCLE_1)
	s_and_b32 s9, s8, s1
	s_and_saveexec_b32 s8, s9
	s_cbranch_execz .LBB0_49
; %bb.48:                               ;   in Loop: Header=BB0_3 Depth=1
	global_load_b64 v[14:15], v[6:7], off offset:176
	global_load_b64 v[16:17], v[8:9], off offset:8
	s_wait_loadcnt 0x0
	v_fmac_f64_e32 v[4:5], v[14:15], v[16:17]
.LBB0_49:                               ;   in Loop: Header=BB0_3 Depth=1
	s_wait_xcnt 0x0
	s_or_b32 exec_lo, exec_lo, s8
	s_and_b32 s5, s5, s3
	s_delay_alu instid0(SALU_CYCLE_1) | instskip(NEXT) | instid1(SALU_CYCLE_1)
	s_and_b32 s5, s5, s11
	s_and_b32 s5, s5, s6
	s_delay_alu instid0(SALU_CYCLE_1) | instskip(NEXT) | instid1(SALU_CYCLE_1)
	s_and_b32 s6, s5, s4
	s_and_saveexec_b32 s5, s6
	s_cbranch_execz .LBB0_51
; %bb.50:                               ;   in Loop: Header=BB0_3 Depth=1
	global_load_b64 v[14:15], v[6:7], off offset:184
	global_load_b64 v[16:17], v[8:9], off offset:16
	s_wait_loadcnt 0x0
	v_fmac_f64_e32 v[4:5], v[14:15], v[16:17]
.LBB0_51:                               ;   in Loop: Header=BB0_3 Depth=1
	s_wait_xcnt 0x0
	s_or_b32 exec_lo, exec_lo, s5
	s_and_b32 s5, s12, s10
	v_lshl_add_u64 v[8:9], s[46:47], 3, v[8:9]
	s_and_b32 s2, s5, s2
	s_delay_alu instid0(SALU_CYCLE_1) | instskip(NEXT) | instid1(SALU_CYCLE_1)
	s_and_b32 s2, s2, s11
	s_and_b32 s2, s2, s7
	s_delay_alu instid0(SALU_CYCLE_1) | instskip(NEXT) | instid1(SALU_CYCLE_1)
	s_and_b32 s6, s2, vcc_lo
	s_and_saveexec_b32 s2, s6
	s_cbranch_execz .LBB0_53
; %bb.52:                               ;   in Loop: Header=BB0_3 Depth=1
	global_load_b64 v[14:15], v[6:7], off offset:192
	global_load_b64 v[16:17], v[8:9], off
	s_wait_loadcnt 0x0
	v_fmac_f64_e32 v[4:5], v[14:15], v[16:17]
.LBB0_53:                               ;   in Loop: Header=BB0_3 Depth=1
	s_wait_xcnt 0x0
	s_or_b32 exec_lo, exec_lo, s2
	s_and_b32 s0, s5, s0
	s_delay_alu instid0(SALU_CYCLE_1) | instskip(NEXT) | instid1(SALU_CYCLE_1)
	s_and_b32 s0, s0, s11
	s_and_b32 s0, s0, s7
	s_delay_alu instid0(SALU_CYCLE_1) | instskip(NEXT) | instid1(SALU_CYCLE_1)
	s_and_b32 s1, s0, s1
	s_and_saveexec_b32 s0, s1
	s_cbranch_execz .LBB0_55
; %bb.54:                               ;   in Loop: Header=BB0_3 Depth=1
	global_load_b64 v[14:15], v[6:7], off offset:200
	global_load_b64 v[16:17], v[8:9], off offset:8
	s_wait_loadcnt 0x0
	v_fmac_f64_e32 v[4:5], v[14:15], v[16:17]
.LBB0_55:                               ;   in Loop: Header=BB0_3 Depth=1
	s_wait_xcnt 0x0
	s_or_b32 exec_lo, exec_lo, s0
	s_and_b32 s0, s5, s3
	s_delay_alu instid0(SALU_CYCLE_1) | instskip(NEXT) | instid1(SALU_CYCLE_1)
	s_and_b32 s0, s0, s11
	s_and_b32 s0, s0, s7
	s_delay_alu instid0(SALU_CYCLE_1) | instskip(NEXT) | instid1(SALU_CYCLE_1)
	s_and_b32 s1, s0, s4
	s_and_saveexec_b32 s0, s1
	s_cbranch_execz .LBB0_57
; %bb.56:                               ;   in Loop: Header=BB0_3 Depth=1
	global_load_b64 v[6:7], v[6:7], off offset:208
	global_load_b64 v[8:9], v[8:9], off offset:16
	s_wait_loadcnt 0x0
	v_fmac_f64_e32 v[4:5], v[6:7], v[8:9]
.LBB0_57:                               ;   in Loop: Header=BB0_3 Depth=1
	s_wait_xcnt 0x0
	s_or_b32 exec_lo, exec_lo, s0
	s_delay_alu instid0(SALU_CYCLE_1)
	s_and_not1_b32 vcc_lo, exec_lo, s43
	s_cbranch_vccnz .LBB0_2
; %bb.58:                               ;   in Loop: Header=BB0_3 Depth=1
	global_load_b64 v[6:7], v10, s[44:45] scale_offset
	s_wait_loadcnt 0x0
	v_add_f64_e32 v[4:5], v[4:5], v[6:7]
	s_branch .LBB0_2
.LBB0_59:
	s_endpgm
	.section	.rodata,"a",@progbits
	.p2align	6, 0x0
	.amdhsa_kernel _ZN2at6native12_GLOBAL__N_128conv_depthwise3d_cuda_kernelIddLi3ELi3ELi3ELi1ELi1ELi1EEEvN5torch10headeronly6detail27GenericPackedTensorAccessorINS5_14TensorAccessorIN3c108ArrayRefIlEEKT_Lm4ENS4_16DefaultPtrTraitsEiEENS_6detail16IndexBoundsCheckILm5EiEESC_Lm5ESD_iEENS6_INS7_ISA_SB_Lm4ESD_iEESH_SB_Lm5ESD_iEESI_PSC_iiiiiiiii
		.amdhsa_group_segment_fixed_size 0
		.amdhsa_private_segment_fixed_size 0
		.amdhsa_kernarg_size 448
		.amdhsa_user_sgpr_count 2
		.amdhsa_user_sgpr_dispatch_ptr 0
		.amdhsa_user_sgpr_queue_ptr 0
		.amdhsa_user_sgpr_kernarg_segment_ptr 1
		.amdhsa_user_sgpr_dispatch_id 0
		.amdhsa_user_sgpr_kernarg_preload_length 0
		.amdhsa_user_sgpr_kernarg_preload_offset 0
		.amdhsa_user_sgpr_private_segment_size 0
		.amdhsa_wavefront_size32 1
		.amdhsa_uses_dynamic_stack 0
		.amdhsa_enable_private_segment 0
		.amdhsa_system_sgpr_workgroup_id_x 1
		.amdhsa_system_sgpr_workgroup_id_y 0
		.amdhsa_system_sgpr_workgroup_id_z 0
		.amdhsa_system_sgpr_workgroup_info 0
		.amdhsa_system_vgpr_workitem_id 0
		.amdhsa_next_free_vgpr 26
		.amdhsa_next_free_sgpr 82
		.amdhsa_named_barrier_count 0
		.amdhsa_reserve_vcc 1
		.amdhsa_float_round_mode_32 0
		.amdhsa_float_round_mode_16_64 0
		.amdhsa_float_denorm_mode_32 3
		.amdhsa_float_denorm_mode_16_64 3
		.amdhsa_fp16_overflow 0
		.amdhsa_memory_ordered 1
		.amdhsa_forward_progress 1
		.amdhsa_inst_pref_size 31
		.amdhsa_round_robin_scheduling 0
		.amdhsa_exception_fp_ieee_invalid_op 0
		.amdhsa_exception_fp_denorm_src 0
		.amdhsa_exception_fp_ieee_div_zero 0
		.amdhsa_exception_fp_ieee_overflow 0
		.amdhsa_exception_fp_ieee_underflow 0
		.amdhsa_exception_fp_ieee_inexact 0
		.amdhsa_exception_int_div_zero 0
	.end_amdhsa_kernel
	.section	.text._ZN2at6native12_GLOBAL__N_128conv_depthwise3d_cuda_kernelIddLi3ELi3ELi3ELi1ELi1ELi1EEEvN5torch10headeronly6detail27GenericPackedTensorAccessorINS5_14TensorAccessorIN3c108ArrayRefIlEEKT_Lm4ENS4_16DefaultPtrTraitsEiEENS_6detail16IndexBoundsCheckILm5EiEESC_Lm5ESD_iEENS6_INS7_ISA_SB_Lm4ESD_iEESH_SB_Lm5ESD_iEESI_PSC_iiiiiiiii,"axG",@progbits,_ZN2at6native12_GLOBAL__N_128conv_depthwise3d_cuda_kernelIddLi3ELi3ELi3ELi1ELi1ELi1EEEvN5torch10headeronly6detail27GenericPackedTensorAccessorINS5_14TensorAccessorIN3c108ArrayRefIlEEKT_Lm4ENS4_16DefaultPtrTraitsEiEENS_6detail16IndexBoundsCheckILm5EiEESC_Lm5ESD_iEENS6_INS7_ISA_SB_Lm4ESD_iEESH_SB_Lm5ESD_iEESI_PSC_iiiiiiiii,comdat
.Lfunc_end0:
	.size	_ZN2at6native12_GLOBAL__N_128conv_depthwise3d_cuda_kernelIddLi3ELi3ELi3ELi1ELi1ELi1EEEvN5torch10headeronly6detail27GenericPackedTensorAccessorINS5_14TensorAccessorIN3c108ArrayRefIlEEKT_Lm4ENS4_16DefaultPtrTraitsEiEENS_6detail16IndexBoundsCheckILm5EiEESC_Lm5ESD_iEENS6_INS7_ISA_SB_Lm4ESD_iEESH_SB_Lm5ESD_iEESI_PSC_iiiiiiiii, .Lfunc_end0-_ZN2at6native12_GLOBAL__N_128conv_depthwise3d_cuda_kernelIddLi3ELi3ELi3ELi1ELi1ELi1EEEvN5torch10headeronly6detail27GenericPackedTensorAccessorINS5_14TensorAccessorIN3c108ArrayRefIlEEKT_Lm4ENS4_16DefaultPtrTraitsEiEENS_6detail16IndexBoundsCheckILm5EiEESC_Lm5ESD_iEENS6_INS7_ISA_SB_Lm4ESD_iEESH_SB_Lm5ESD_iEESI_PSC_iiiiiiiii
                                        ; -- End function
	.set _ZN2at6native12_GLOBAL__N_128conv_depthwise3d_cuda_kernelIddLi3ELi3ELi3ELi1ELi1ELi1EEEvN5torch10headeronly6detail27GenericPackedTensorAccessorINS5_14TensorAccessorIN3c108ArrayRefIlEEKT_Lm4ENS4_16DefaultPtrTraitsEiEENS_6detail16IndexBoundsCheckILm5EiEESC_Lm5ESD_iEENS6_INS7_ISA_SB_Lm4ESD_iEESH_SB_Lm5ESD_iEESI_PSC_iiiiiiiii.num_vgpr, 26
	.set _ZN2at6native12_GLOBAL__N_128conv_depthwise3d_cuda_kernelIddLi3ELi3ELi3ELi1ELi1ELi1EEEvN5torch10headeronly6detail27GenericPackedTensorAccessorINS5_14TensorAccessorIN3c108ArrayRefIlEEKT_Lm4ENS4_16DefaultPtrTraitsEiEENS_6detail16IndexBoundsCheckILm5EiEESC_Lm5ESD_iEENS6_INS7_ISA_SB_Lm4ESD_iEESH_SB_Lm5ESD_iEESI_PSC_iiiiiiiii.num_agpr, 0
	.set _ZN2at6native12_GLOBAL__N_128conv_depthwise3d_cuda_kernelIddLi3ELi3ELi3ELi1ELi1ELi1EEEvN5torch10headeronly6detail27GenericPackedTensorAccessorINS5_14TensorAccessorIN3c108ArrayRefIlEEKT_Lm4ENS4_16DefaultPtrTraitsEiEENS_6detail16IndexBoundsCheckILm5EiEESC_Lm5ESD_iEENS6_INS7_ISA_SB_Lm4ESD_iEESH_SB_Lm5ESD_iEESI_PSC_iiiiiiiii.numbered_sgpr, 82
	.set _ZN2at6native12_GLOBAL__N_128conv_depthwise3d_cuda_kernelIddLi3ELi3ELi3ELi1ELi1ELi1EEEvN5torch10headeronly6detail27GenericPackedTensorAccessorINS5_14TensorAccessorIN3c108ArrayRefIlEEKT_Lm4ENS4_16DefaultPtrTraitsEiEENS_6detail16IndexBoundsCheckILm5EiEESC_Lm5ESD_iEENS6_INS7_ISA_SB_Lm4ESD_iEESH_SB_Lm5ESD_iEESI_PSC_iiiiiiiii.num_named_barrier, 0
	.set _ZN2at6native12_GLOBAL__N_128conv_depthwise3d_cuda_kernelIddLi3ELi3ELi3ELi1ELi1ELi1EEEvN5torch10headeronly6detail27GenericPackedTensorAccessorINS5_14TensorAccessorIN3c108ArrayRefIlEEKT_Lm4ENS4_16DefaultPtrTraitsEiEENS_6detail16IndexBoundsCheckILm5EiEESC_Lm5ESD_iEENS6_INS7_ISA_SB_Lm4ESD_iEESH_SB_Lm5ESD_iEESI_PSC_iiiiiiiii.private_seg_size, 0
	.set _ZN2at6native12_GLOBAL__N_128conv_depthwise3d_cuda_kernelIddLi3ELi3ELi3ELi1ELi1ELi1EEEvN5torch10headeronly6detail27GenericPackedTensorAccessorINS5_14TensorAccessorIN3c108ArrayRefIlEEKT_Lm4ENS4_16DefaultPtrTraitsEiEENS_6detail16IndexBoundsCheckILm5EiEESC_Lm5ESD_iEENS6_INS7_ISA_SB_Lm4ESD_iEESH_SB_Lm5ESD_iEESI_PSC_iiiiiiiii.uses_vcc, 1
	.set _ZN2at6native12_GLOBAL__N_128conv_depthwise3d_cuda_kernelIddLi3ELi3ELi3ELi1ELi1ELi1EEEvN5torch10headeronly6detail27GenericPackedTensorAccessorINS5_14TensorAccessorIN3c108ArrayRefIlEEKT_Lm4ENS4_16DefaultPtrTraitsEiEENS_6detail16IndexBoundsCheckILm5EiEESC_Lm5ESD_iEENS6_INS7_ISA_SB_Lm4ESD_iEESH_SB_Lm5ESD_iEESI_PSC_iiiiiiiii.uses_flat_scratch, 0
	.set _ZN2at6native12_GLOBAL__N_128conv_depthwise3d_cuda_kernelIddLi3ELi3ELi3ELi1ELi1ELi1EEEvN5torch10headeronly6detail27GenericPackedTensorAccessorINS5_14TensorAccessorIN3c108ArrayRefIlEEKT_Lm4ENS4_16DefaultPtrTraitsEiEENS_6detail16IndexBoundsCheckILm5EiEESC_Lm5ESD_iEENS6_INS7_ISA_SB_Lm4ESD_iEESH_SB_Lm5ESD_iEESI_PSC_iiiiiiiii.has_dyn_sized_stack, 0
	.set _ZN2at6native12_GLOBAL__N_128conv_depthwise3d_cuda_kernelIddLi3ELi3ELi3ELi1ELi1ELi1EEEvN5torch10headeronly6detail27GenericPackedTensorAccessorINS5_14TensorAccessorIN3c108ArrayRefIlEEKT_Lm4ENS4_16DefaultPtrTraitsEiEENS_6detail16IndexBoundsCheckILm5EiEESC_Lm5ESD_iEENS6_INS7_ISA_SB_Lm4ESD_iEESH_SB_Lm5ESD_iEESI_PSC_iiiiiiiii.has_recursion, 0
	.set _ZN2at6native12_GLOBAL__N_128conv_depthwise3d_cuda_kernelIddLi3ELi3ELi3ELi1ELi1ELi1EEEvN5torch10headeronly6detail27GenericPackedTensorAccessorINS5_14TensorAccessorIN3c108ArrayRefIlEEKT_Lm4ENS4_16DefaultPtrTraitsEiEENS_6detail16IndexBoundsCheckILm5EiEESC_Lm5ESD_iEENS6_INS7_ISA_SB_Lm4ESD_iEESH_SB_Lm5ESD_iEESI_PSC_iiiiiiiii.has_indirect_call, 0
	.section	.AMDGPU.csdata,"",@progbits
; Kernel info:
; codeLenInByte = 3960
; TotalNumSgprs: 84
; NumVgprs: 26
; ScratchSize: 0
; MemoryBound: 1
; FloatMode: 240
; IeeeMode: 1
; LDSByteSize: 0 bytes/workgroup (compile time only)
; SGPRBlocks: 0
; VGPRBlocks: 1
; NumSGPRsForWavesPerEU: 84
; NumVGPRsForWavesPerEU: 26
; NamedBarCnt: 0
; Occupancy: 16
; WaveLimiterHint : 0
; COMPUTE_PGM_RSRC2:SCRATCH_EN: 0
; COMPUTE_PGM_RSRC2:USER_SGPR: 2
; COMPUTE_PGM_RSRC2:TRAP_HANDLER: 0
; COMPUTE_PGM_RSRC2:TGID_X_EN: 1
; COMPUTE_PGM_RSRC2:TGID_Y_EN: 0
; COMPUTE_PGM_RSRC2:TGID_Z_EN: 0
; COMPUTE_PGM_RSRC2:TIDIG_COMP_CNT: 0
	.section	.text._ZN2at6native12_GLOBAL__N_128conv_depthwise3d_cuda_kernelIddLin1ELin1ELin1ELi1ELi1ELi1EEEvN5torch10headeronly6detail27GenericPackedTensorAccessorINS5_14TensorAccessorIN3c108ArrayRefIlEEKT_Lm4ENS4_16DefaultPtrTraitsEiEENS_6detail16IndexBoundsCheckILm5EiEESC_Lm5ESD_iEENS6_INS7_ISA_SB_Lm4ESD_iEESH_SB_Lm5ESD_iEESI_PSC_iiiiiiiii,"axG",@progbits,_ZN2at6native12_GLOBAL__N_128conv_depthwise3d_cuda_kernelIddLin1ELin1ELin1ELi1ELi1ELi1EEEvN5torch10headeronly6detail27GenericPackedTensorAccessorINS5_14TensorAccessorIN3c108ArrayRefIlEEKT_Lm4ENS4_16DefaultPtrTraitsEiEENS_6detail16IndexBoundsCheckILm5EiEESC_Lm5ESD_iEENS6_INS7_ISA_SB_Lm4ESD_iEESH_SB_Lm5ESD_iEESI_PSC_iiiiiiiii,comdat
	.globl	_ZN2at6native12_GLOBAL__N_128conv_depthwise3d_cuda_kernelIddLin1ELin1ELin1ELi1ELi1ELi1EEEvN5torch10headeronly6detail27GenericPackedTensorAccessorINS5_14TensorAccessorIN3c108ArrayRefIlEEKT_Lm4ENS4_16DefaultPtrTraitsEiEENS_6detail16IndexBoundsCheckILm5EiEESC_Lm5ESD_iEENS6_INS7_ISA_SB_Lm4ESD_iEESH_SB_Lm5ESD_iEESI_PSC_iiiiiiiii ; -- Begin function _ZN2at6native12_GLOBAL__N_128conv_depthwise3d_cuda_kernelIddLin1ELin1ELin1ELi1ELi1ELi1EEEvN5torch10headeronly6detail27GenericPackedTensorAccessorINS5_14TensorAccessorIN3c108ArrayRefIlEEKT_Lm4ENS4_16DefaultPtrTraitsEiEENS_6detail16IndexBoundsCheckILm5EiEESC_Lm5ESD_iEENS6_INS7_ISA_SB_Lm4ESD_iEESH_SB_Lm5ESD_iEESI_PSC_iiiiiiiii
	.p2align	8
	.type	_ZN2at6native12_GLOBAL__N_128conv_depthwise3d_cuda_kernelIddLin1ELin1ELin1ELi1ELi1ELi1EEEvN5torch10headeronly6detail27GenericPackedTensorAccessorINS5_14TensorAccessorIN3c108ArrayRefIlEEKT_Lm4ENS4_16DefaultPtrTraitsEiEENS_6detail16IndexBoundsCheckILm5EiEESC_Lm5ESD_iEENS6_INS7_ISA_SB_Lm4ESD_iEESH_SB_Lm5ESD_iEESI_PSC_iiiiiiiii,@function
_ZN2at6native12_GLOBAL__N_128conv_depthwise3d_cuda_kernelIddLin1ELin1ELin1ELi1ELi1ELi1EEEvN5torch10headeronly6detail27GenericPackedTensorAccessorINS5_14TensorAccessorIN3c108ArrayRefIlEEKT_Lm4ENS4_16DefaultPtrTraitsEiEENS_6detail16IndexBoundsCheckILm5EiEESC_Lm5ESD_iEENS6_INS7_ISA_SB_Lm4ESD_iEESH_SB_Lm5ESD_iEESI_PSC_iiiiiiiii: ; @_ZN2at6native12_GLOBAL__N_128conv_depthwise3d_cuda_kernelIddLin1ELin1ELin1ELi1ELi1ELi1EEEvN5torch10headeronly6detail27GenericPackedTensorAccessorINS5_14TensorAccessorIN3c108ArrayRefIlEEKT_Lm4ENS4_16DefaultPtrTraitsEiEENS_6detail16IndexBoundsCheckILm5EiEESC_Lm5ESD_iEENS6_INS7_ISA_SB_Lm4ESD_iEESH_SB_Lm5ESD_iEESI_PSC_iiiiiiiii
; %bb.0:
	s_clause 0x2
	s_load_b128 s[4:7], s[0:1], 0xc
	s_load_b32 s2, s[0:1], 0xcc
	s_load_b64 s[28:29], s[0:1], 0x48
	s_bfe_u32 s3, ttmp6, 0x4000c
	s_load_b128 s[8:11], s[0:1], 0x38
	s_add_co_i32 s3, s3, 1
	s_and_b32 s12, ttmp6, 15
	s_mul_i32 s3, ttmp9, s3
	s_getreg_b32 s13, hwreg(HW_REG_IB_STS2, 6, 4)
	v_mov_b32_e32 v1, 0
	s_add_co_i32 s12, s12, s3
	s_mov_b32 s35, 0
	s_wait_kmcnt 0x0
	s_abs_i32 s16, s4
	s_and_b32 s2, s2, 0xffff
	s_cmp_eq_u32 s13, 0
	s_mul_i32 s30, s29, s8
	s_cselect_b32 s3, ttmp9, s12
	s_ashr_i32 s31, s30, 31
	v_mad_nc_u64_u32 v[2:3], s2, s3, v[0:1]
	s_cvt_f32_u32 s3, s16
	s_mov_b32 s8, exec_lo
	s_delay_alu instid0(SALU_CYCLE_2) | instskip(SKIP_1) | instid1(TRANS32_DEP_1)
	v_rcp_iflag_f32_e32 v0, s3
	v_nop
	v_readfirstlane_b32 s3, v0
	s_delay_alu instid0(VALU_DEP_3)
	v_cmpx_gt_i64_e64 s[30:31], v[2:3]
	s_cbranch_execz .LBB1_17
; %bb.1:
	s_mul_f32 s3, s3, 0x4f7ffffe
	s_sub_co_i32 s12, 0, s16
	s_abs_i32 s36, s9
	s_mov_b32 s37, s35
	s_cvt_u32_f32 s8, s3
	s_ashr_i32 s3, s9, 31
	s_ashr_i32 s4, s4, 31
	s_add_nc_u64 s[20:21], s[0:1], 0xc0
	s_mul_i32 s12, s12, s8
	s_xor_b32 s4, s3, s4
	s_mul_hi_u32 s12, s8, s12
	s_cvt_f32_u32 s52, s36
	s_add_co_i32 s34, s8, s12
	s_clause 0x1
	s_load_b128 s[12:15], s[0:1], 0x70
	s_load_b64 s[38:39], s[0:1], 0x90
	s_mul_u64 s[18:19], s[36:37], s[34:35]
	v_rcp_iflag_f32_e32 v5, s52
	s_mul_i32 s8, s19, s16
	s_add_co_i32 s17, s19, 1
	s_sub_co_i32 s8, s36, s8
	s_mov_b32 s59, s35
	s_sub_co_i32 s18, s8, s16
	s_cmp_ge_u32 s8, s16
	s_mov_b32 s61, s35
	s_cselect_b32 s17, s17, s19
	s_cselect_b32 s8, s18, s8
	s_add_co_i32 s18, s17, 1
	s_cmp_ge_u32 s8, s16
	s_mov_b32 s71, s35
	s_cselect_b32 s8, s18, s17
	s_clause 0x1
	s_load_b128 s[16:19], s[0:1], 0x98
	s_load_b64 s[40:41], s[0:1], 0xa8
	s_xor_b32 s8, s8, s4
	s_load_b32 s34, s[20:21], 0x0
	s_sub_co_i32 s60, s8, s4
	s_wait_kmcnt 0x0
	s_cmp_gt_i32 s12, 0
	s_cselect_b32 s4, -1, 0
	s_cmp_gt_i32 s13, 0
	s_cselect_b32 s8, -1, 0
	;; [unrolled: 2-line block ×3, first 2 shown]
	s_sub_co_i32 s20, s6, s13
	s_sub_co_i32 s42, s7, s14
	s_mul_i32 s44, s7, s20
	s_ashr_i32 s43, s42, 31
	s_ashr_i32 s45, s44, 31
	s_cmp_lg_u64 s[38:39], 0
	s_clause 0x1
	s_load_b64 s[46:47], s[0:1], 0x0
	s_load_b128 s[20:23], s[0:1], 0x1c
	s_cselect_b32 s37, -1, 0
	s_abs_i32 s62, s28
	s_abs_i32 s64, s11
	s_cvt_f32_u32 s24, s62
	s_cvt_f32_u32 s53, s64
	s_clause 0x1
	s_load_b32 s63, s[0:1], 0x2c
	s_load_b64 s[48:49], s[0:1], 0x30
	s_abs_i32 s65, s10
	v_rcp_iflag_f32_e32 v0, s24
	v_rcp_iflag_f32_e32 v4, s53
	s_clause 0x1
	s_load_b64 s[50:51], s[0:1], 0x60
	s_load_b128 s[24:27], s[0:1], 0x50
	s_mul_i32 s34, s34, s2
	s_wait_xcnt 0x0
	s_cvt_f32_u32 s1, s65
	s_sub_co_i32 s52, 0, s64
	s_abs_i32 s68, s60
	v_readfirstlane_b32 s0, v0
	v_readfirstlane_b32 s2, v4
	v_rcp_iflag_f32_e32 v0, s1
	s_mov_b32 s53, s35
	s_ashr_i32 s66, s28, 31
	s_mul_f32 s0, s0, 0x4f7ffffe
	s_mul_f32 s1, s2, 0x4f7ffffe
	s_sub_co_i32 s2, 0, s62
	s_ashr_i32 s67, s11, 31
	s_cvt_u32_f32 s0, s0
	s_cvt_u32_f32 s1, s1
	v_nop
	v_readfirstlane_b32 s55, v0
	s_ashr_i32 s69, s10, 31
	s_mul_i32 s2, s2, s0
	s_mul_i32 s54, s52, s1
	s_mul_hi_u32 s2, s0, s2
	s_ashr_i32 s70, s60, 31
	s_add_co_i32 s52, s0, s2
	s_cvt_f32_u32 s2, s68
	s_mul_hi_u32 s0, s1, s54
	s_delay_alu instid0(SALU_CYCLE_1)
	s_add_co_i32 s54, s1, s0
	s_mul_f32 s0, s55, 0x4f7ffffe
	v_rcp_iflag_f32_e32 v0, s2
	v_readfirstlane_b32 s1, v5
	s_sub_co_i32 s2, 0, s65
	s_cvt_u32_f32 s0, s0
	s_mov_b32 s55, s35
	s_mul_f32 s1, s1, 0x4f7ffffe
	s_delay_alu instid0(TRANS32_DEP_1) | instskip(SKIP_1) | instid1(SALU_CYCLE_1)
	v_readfirstlane_b32 s57, v0
	s_mul_i32 s2, s2, s0
	s_mul_hi_u32 s2, s0, s2
	s_cvt_u32_f32 s1, s1
	s_add_co_i32 s56, s0, s2
	s_sub_co_i32 s0, 0, s36
	s_mul_f32 s2, s57, 0x4f7ffffe
	s_mul_i32 s0, s0, s1
	s_mov_b32 s57, s35
	s_mul_hi_u32 s0, s1, s0
	s_cvt_u32_f32 s2, s2
	s_add_co_i32 s58, s1, s0
	s_sub_co_i32 s0, 0, s68
	s_delay_alu instid0(SALU_CYCLE_1) | instskip(NEXT) | instid1(SALU_CYCLE_1)
	s_mul_i32 s0, s0, s2
	s_mul_hi_u32 s0, s2, s0
	s_delay_alu instid0(SALU_CYCLE_1)
	s_add_co_i32 s60, s2, s0
	s_branch .LBB1_3
.LBB1_2:                                ;   in Loop: Header=BB1_3 Depth=1
	v_mul_lo_u32 v6, v13, s29
	s_wait_kmcnt 0x0
	v_mul_lo_u32 v8, s24, v14
	v_mul_lo_u32 v12, s25, v12
	s_wait_xcnt 0x0
	v_mul_lo_u32 v14, s26, v11
	v_mul_lo_u32 v10, s27, v10
	v_add_nc_u64_e32 v[2:3], s[34:35], v[2:3]
	v_dual_ashrrev_i32 v7, 31, v6 :: v_dual_ashrrev_i32 v9, 31, v8
	s_delay_alu instid0(VALU_DEP_4) | instskip(NEXT) | instid1(VALU_DEP_4)
	v_dual_ashrrev_i32 v13, 31, v12 :: v_dual_ashrrev_i32 v15, 31, v14
	v_ashrrev_i32_e32 v11, 31, v10
	s_delay_alu instid0(VALU_DEP_3) | instskip(SKIP_1) | instid1(VALU_DEP_2)
	v_lshl_add_u64 v[6:7], v[6:7], 3, s[48:49]
	v_cmp_le_i64_e32 vcc_lo, s[30:31], v[2:3]
	v_lshl_add_u64 v[6:7], v[8:9], 3, v[6:7]
	s_or_b32 s71, vcc_lo, s71
	s_delay_alu instid0(VALU_DEP_1) | instskip(NEXT) | instid1(VALU_DEP_1)
	v_lshl_add_u64 v[6:7], v[12:13], 3, v[6:7]
	v_lshl_add_u64 v[6:7], v[14:15], 3, v[6:7]
	s_delay_alu instid0(VALU_DEP_1)
	v_lshl_add_u64 v[6:7], v[10:11], 3, v[6:7]
	global_store_b64 v[6:7], v[4:5], off
	s_wait_xcnt 0x0
	s_and_not1_b32 exec_lo, exec_lo, s71
	s_cbranch_execz .LBB1_17
.LBB1_3:                                ; =>This Loop Header: Depth=1
                                        ;     Child Loop BB1_6 Depth 2
                                        ;       Child Loop BB1_9 Depth 3
                                        ;         Child Loop BB1_12 Depth 4
	v_sub_nc_u32_e32 v0, 0, v2
	s_delay_alu instid0(VALU_DEP_1) | instskip(NEXT) | instid1(VALU_DEP_1)
	v_max_i32_e32 v0, v2, v0
	v_mul_u64_e32 v[4:5], s[52:53], v[0:1]
	s_delay_alu instid0(VALU_DEP_1) | instskip(NEXT) | instid1(VALU_DEP_1)
	v_mul_lo_u32 v4, v5, s62
	v_dual_sub_nc_u32 v0, v0, v4 :: v_dual_add_nc_u32 v4, 1, v5
	s_delay_alu instid0(VALU_DEP_1) | instskip(NEXT) | instid1(VALU_DEP_2)
	v_cmp_le_u32_e32 vcc_lo, s62, v0
	v_cndmask_b32_e32 v4, v5, v4, vcc_lo
	v_subrev_nc_u32_e32 v6, s62, v0
	v_ashrrev_i32_e32 v5, 31, v2
	s_delay_alu instid0(VALU_DEP_2) | instskip(NEXT) | instid1(VALU_DEP_1)
	v_dual_cndmask_b32 v0, v0, v6, vcc_lo :: v_dual_add_nc_u32 v6, 1, v4
	v_cmp_le_u32_e32 vcc_lo, s62, v0
	s_delay_alu instid0(VALU_DEP_2) | instskip(NEXT) | instid1(VALU_DEP_1)
	v_dual_cndmask_b32 v0, v4, v6, vcc_lo :: v_dual_bitop2_b32 v5, s66, v5 bitop3:0x14
	v_xor_b32_e32 v0, v0, v5
	s_delay_alu instid0(VALU_DEP_1) | instskip(NEXT) | instid1(VALU_DEP_1)
	v_sub_nc_u32_e32 v6, v0, v5
	v_sub_nc_u32_e32 v0, 0, v6
	s_delay_alu instid0(VALU_DEP_1) | instskip(NEXT) | instid1(VALU_DEP_1)
	v_max_i32_e32 v0, v6, v0
	v_mul_u64_e32 v[4:5], s[54:55], v[0:1]
	s_delay_alu instid0(VALU_DEP_1) | instskip(NEXT) | instid1(VALU_DEP_1)
	v_mul_lo_u32 v4, v5, s64
	v_dual_sub_nc_u32 v0, v0, v4 :: v_dual_add_nc_u32 v4, 1, v5
	s_delay_alu instid0(VALU_DEP_1) | instskip(SKIP_1) | instid1(VALU_DEP_2)
	v_subrev_nc_u32_e32 v7, s64, v0
	v_cmp_le_u32_e32 vcc_lo, s64, v0
	v_dual_cndmask_b32 v4, v5, v4, vcc_lo :: v_dual_cndmask_b32 v0, v0, v7, vcc_lo
	s_delay_alu instid0(VALU_DEP_1) | instskip(NEXT) | instid1(VALU_DEP_2)
	v_dual_ashrrev_i32 v5, 31, v6 :: v_dual_add_nc_u32 v7, 1, v4
	v_cmp_le_u32_e32 vcc_lo, s64, v0
	s_delay_alu instid0(VALU_DEP_2) | instskip(NEXT) | instid1(VALU_DEP_1)
	v_dual_cndmask_b32 v0, v4, v7, vcc_lo :: v_dual_bitop2_b32 v5, s67, v5 bitop3:0x14
	v_xor_b32_e32 v0, v0, v5
	s_delay_alu instid0(VALU_DEP_1) | instskip(NEXT) | instid1(VALU_DEP_1)
	v_sub_nc_u32_e32 v7, v0, v5
	v_sub_nc_u32_e32 v0, 0, v7
	s_delay_alu instid0(VALU_DEP_1) | instskip(NEXT) | instid1(VALU_DEP_1)
	v_max_i32_e32 v0, v7, v0
	v_mul_u64_e32 v[4:5], s[56:57], v[0:1]
	s_delay_alu instid0(VALU_DEP_1) | instskip(NEXT) | instid1(VALU_DEP_1)
	v_mul_lo_u32 v4, v5, s65
	v_dual_sub_nc_u32 v0, v0, v4 :: v_dual_add_nc_u32 v4, 1, v5
	s_delay_alu instid0(VALU_DEP_1) | instskip(SKIP_1) | instid1(VALU_DEP_3)
	v_subrev_nc_u32_e32 v8, s65, v0
	v_cmp_le_u32_e32 vcc_lo, s65, v0
	v_dual_cndmask_b32 v4, v5, v4 :: v_dual_ashrrev_i32 v5, 31, v7
	s_delay_alu instid0(VALU_DEP_1) | instskip(NEXT) | instid1(VALU_DEP_2)
	v_dual_cndmask_b32 v0, v0, v8, vcc_lo :: v_dual_bitop2_b32 v5, s69, v5 bitop3:0x14
	v_add_nc_u32_e32 v8, 1, v4
	s_delay_alu instid0(VALU_DEP_2) | instskip(NEXT) | instid1(VALU_DEP_2)
	v_cmp_le_u32_e32 vcc_lo, s65, v0
	v_cndmask_b32_e32 v0, v4, v8, vcc_lo
	s_delay_alu instid0(VALU_DEP_1) | instskip(NEXT) | instid1(VALU_DEP_1)
	v_xor_b32_e32 v0, v0, v5
	v_sub_nc_u32_e32 v8, v0, v5
	s_delay_alu instid0(VALU_DEP_1) | instskip(NEXT) | instid1(VALU_DEP_1)
	v_sub_nc_u32_e32 v0, 0, v8
	v_max_i32_e32 v0, v8, v0
	s_delay_alu instid0(VALU_DEP_1) | instskip(NEXT) | instid1(VALU_DEP_1)
	v_mul_u64_e32 v[4:5], s[58:59], v[0:1]
	v_mul_lo_u32 v4, v5, s36
	s_delay_alu instid0(VALU_DEP_1) | instskip(NEXT) | instid1(VALU_DEP_1)
	v_dual_sub_nc_u32 v0, v0, v4 :: v_dual_add_nc_u32 v4, 1, v5
	v_subrev_nc_u32_e32 v9, s36, v0
	v_cmp_le_u32_e32 vcc_lo, s36, v0
	s_delay_alu instid0(VALU_DEP_2) | instskip(SKIP_1) | instid1(VALU_DEP_2)
	v_dual_cndmask_b32 v4, v5, v4, vcc_lo :: v_dual_cndmask_b32 v0, v0, v9, vcc_lo
	v_ashrrev_i32_e32 v5, 31, v8
	v_add_nc_u32_e32 v9, 1, v4
	s_delay_alu instid0(VALU_DEP_3) | instskip(NEXT) | instid1(VALU_DEP_3)
	v_cmp_le_u32_e32 vcc_lo, s36, v0
	v_xor_b32_e32 v5, s3, v5
	s_delay_alu instid0(VALU_DEP_3) | instskip(SKIP_2) | instid1(VALU_DEP_1)
	v_cndmask_b32_e32 v0, v4, v9, vcc_lo
	v_mul_lo_u32 v4, v7, s11
	s_and_not1_b32 vcc_lo, exec_lo, s4
	v_dual_sub_nc_u32 v11, v6, v4 :: v_dual_bitop2_b32 v0, v0, v5 bitop3:0x14
	s_delay_alu instid0(VALU_DEP_1) | instskip(SKIP_2) | instid1(VALU_DEP_2)
	v_sub_nc_u32_e32 v13, v0, v5
	v_mul_lo_u32 v0, v6, s28
	v_mul_lo_u32 v5, v8, s10
	v_sub_nc_u32_e32 v10, v2, v0
	s_delay_alu instid0(VALU_DEP_4) | instskip(NEXT) | instid1(VALU_DEP_3)
	v_mul_lo_u32 v9, v13, s9
	v_sub_nc_u32_e32 v12, v7, v5
	s_delay_alu instid0(VALU_DEP_2)
	v_sub_nc_u32_e32 v14, v8, v9
	s_cbranch_vccnz .LBB1_14
; %bb.4:                                ;   in Loop: Header=BB1_3 Depth=1
	s_delay_alu instid0(VALU_DEP_1)
	v_sub_nc_u32_e32 v0, 0, v14
	v_mul_lo_u32 v7, v11, s17
	v_mul_lo_u32 v9, v10, s18
	;; [unrolled: 1-line block ×3, first 2 shown]
	s_mov_b32 s72, 0
	v_max_i32_e32 v0, v14, v0
	s_delay_alu instid0(VALU_DEP_1) | instskip(SKIP_4) | instid1(VALU_DEP_3)
	v_mul_u64_e32 v[4:5], s[60:61], v[0:1]
	v_subrev_nc_u32_e32 v15, s40, v7
	v_subrev_nc_u32_e32 v16, s41, v9
	v_ashrrev_i32_e32 v21, 31, v20
	s_wait_kmcnt 0x0
	v_mul_lo_u32 v18, s23, v15
	s_delay_alu instid0(VALU_DEP_3) | instskip(NEXT) | instid1(VALU_DEP_2)
	v_mul_lo_u32 v22, s63, v16
	v_ashrrev_i32_e32 v19, 31, v18
	s_delay_alu instid0(VALU_DEP_2) | instskip(SKIP_1) | instid1(VALU_DEP_1)
	v_ashrrev_i32_e32 v23, 31, v22
	v_mul_lo_u32 v4, v5, s68
	v_dual_sub_nc_u32 v0, v0, v4 :: v_dual_add_nc_u32 v4, 1, v5
	s_delay_alu instid0(VALU_DEP_1) | instskip(NEXT) | instid1(VALU_DEP_2)
	v_cmp_le_u32_e32 vcc_lo, s68, v0
	v_cndmask_b32_e32 v4, v5, v4, vcc_lo
	v_subrev_nc_u32_e32 v6, s68, v0
	v_ashrrev_i32_e32 v5, 31, v14
	s_delay_alu instid0(VALU_DEP_2) | instskip(NEXT) | instid1(VALU_DEP_1)
	v_dual_cndmask_b32 v0, v0, v6, vcc_lo :: v_dual_add_nc_u32 v6, 1, v4
	v_cmp_le_u32_e32 vcc_lo, s68, v0
	s_delay_alu instid0(VALU_DEP_2) | instskip(SKIP_2) | instid1(VALU_DEP_3)
	v_dual_cndmask_b32 v0, v4, v6, vcc_lo :: v_dual_bitop2_b32 v5, s70, v5 bitop3:0x14
	v_mul_lo_u32 v6, v12, s16
	v_mul_lo_u32 v4, s20, v13
	v_xor_b32_e32 v0, v0, v5
	s_delay_alu instid0(VALU_DEP_1) | instskip(NEXT) | instid1(VALU_DEP_4)
	v_sub_nc_u32_e32 v5, v0, v5
	v_subrev_nc_u32_e32 v0, s19, v6
	s_delay_alu instid0(VALU_DEP_2) | instskip(SKIP_1) | instid1(VALU_DEP_3)
	v_mul_lo_u32 v6, s21, v5
	v_ashrrev_i32_e32 v5, 31, v4
	v_mul_lo_u32 v8, s22, v0
	s_delay_alu instid0(VALU_DEP_2) | instskip(NEXT) | instid1(VALU_DEP_2)
	v_lshl_add_u64 v[4:5], v[4:5], 3, s[46:47]
	v_dual_ashrrev_i32 v7, 31, v6 :: v_dual_ashrrev_i32 v9, 31, v8
	s_delay_alu instid0(VALU_DEP_1) | instskip(NEXT) | instid1(VALU_DEP_1)
	v_lshl_add_u64 v[4:5], v[6:7], 3, v[4:5]
	v_lshl_add_u64 v[4:5], v[8:9], 3, v[4:5]
	;; [unrolled: 1-line block ×3, first 2 shown]
	s_delay_alu instid0(VALU_DEP_2) | instskip(SKIP_1) | instid1(VALU_DEP_2)
	v_lshl_add_u64 v[6:7], v[18:19], 3, v[4:5]
	v_mov_b64_e32 v[4:5], 0
	v_lshl_add_u64 v[6:7], v[22:23], 3, v[6:7]
	s_branch .LBB1_6
.LBB1_5:                                ;   in Loop: Header=BB1_6 Depth=2
	s_delay_alu instid0(VALU_DEP_1) | instskip(SKIP_1) | instid1(SALU_CYCLE_1)
	v_lshl_add_u64 v[6:7], s[44:45], 3, v[6:7]
	s_add_co_i32 s72, s72, 1
	s_cmp_eq_u32 s72, s12
	s_cbranch_scc1 .LBB1_15
.LBB1_6:                                ;   Parent Loop BB1_3 Depth=1
                                        ; =>  This Loop Header: Depth=2
                                        ;       Child Loop BB1_9 Depth 3
                                        ;         Child Loop BB1_12 Depth 4
	s_and_not1_b32 vcc_lo, exec_lo, s8
	s_cbranch_vccnz .LBB1_5
; %bb.7:                                ;   in Loop: Header=BB1_6 Depth=2
	v_add_nc_u32_e32 v17, s72, v0
	s_mov_b32 s73, 0
	s_delay_alu instid0(VALU_DEP_1)
	v_cmp_lt_i32_e64 s0, -1, v17
	v_cmp_gt_i32_e64 s1, s5, v17
	s_branch .LBB1_9
.LBB1_8:                                ;   in Loop: Header=BB1_9 Depth=3
	s_delay_alu instid0(VALU_DEP_2) | instskip(SKIP_1) | instid1(SALU_CYCLE_1)
	v_lshl_add_u64 v[6:7], s[42:43], 3, v[6:7]
	s_add_co_i32 s73, s73, 1
	s_cmp_eq_u32 s73, s13
	s_cbranch_scc1 .LBB1_5
.LBB1_9:                                ;   Parent Loop BB1_3 Depth=1
                                        ;     Parent Loop BB1_6 Depth=2
                                        ; =>    This Loop Header: Depth=3
                                        ;         Child Loop BB1_12 Depth 4
	s_and_not1_b32 vcc_lo, exec_lo, s33
	s_cbranch_vccnz .LBB1_8
; %bb.10:                               ;   in Loop: Header=BB1_9 Depth=3
	v_dual_mov_b32 v17, v16 :: v_dual_add_nc_u32 v18, s73, v15
	s_mov_b32 s75, s14
	s_delay_alu instid0(VALU_DEP_1)
	v_cmp_lt_i32_e64 s2, -1, v18
	v_cmp_gt_i32_e32 vcc_lo, s6, v18
	s_and_b32 s74, s0, s2
	s_branch .LBB1_12
.LBB1_11:                               ;   in Loop: Header=BB1_12 Depth=4
	s_wait_xcnt 0x0
	s_or_b32 exec_lo, exec_lo, s2
	v_add_nc_u64_e32 v[8:9], 8, v[8:9]
	v_add_nc_u64_e32 v[6:7], 8, v[6:7]
	v_add_nc_u32_e32 v17, 1, v17
	s_add_co_i32 s75, s75, -1
	s_delay_alu instid0(SALU_CYCLE_1)
	s_cmp_eq_u32 s75, 0
	s_cbranch_scc1 .LBB1_8
.LBB1_12:                               ;   Parent Loop BB1_3 Depth=1
                                        ;     Parent Loop BB1_6 Depth=2
                                        ;       Parent Loop BB1_9 Depth=3
                                        ; =>      This Inner Loop Header: Depth=4
	s_delay_alu instid0(VALU_DEP_1) | instskip(SKIP_3) | instid1(SALU_CYCLE_1)
	v_cmp_lt_i32_e64 s2, -1, v17
	s_and_b32 s76, s74, s2
	v_cmp_gt_i32_e64 s2, s7, v17
	s_and_b32 s76, s76, s1
	s_and_b32 s76, s76, vcc_lo
	s_delay_alu instid0(SALU_CYCLE_1) | instskip(NEXT) | instid1(SALU_CYCLE_1)
	s_and_b32 s76, s76, s2
	s_and_saveexec_b32 s2, s76
	s_cbranch_execz .LBB1_11
; %bb.13:                               ;   in Loop: Header=BB1_12 Depth=4
	global_load_b64 v[18:19], v[8:9], off
	global_load_b64 v[20:21], v[6:7], off
	s_wait_loadcnt 0x0
	v_fmac_f64_e32 v[4:5], v[18:19], v[20:21]
	s_branch .LBB1_11
.LBB1_14:                               ;   in Loop: Header=BB1_3 Depth=1
	v_mov_b64_e32 v[4:5], 0
.LBB1_15:                               ;   in Loop: Header=BB1_3 Depth=1
	s_and_b32 vcc_lo, exec_lo, s37
	s_cbranch_vccz .LBB1_2
; %bb.16:                               ;   in Loop: Header=BB1_3 Depth=1
	global_load_b64 v[6:7], v14, s[38:39] scale_offset
	s_wait_loadcnt 0x0
	v_add_f64_e32 v[4:5], v[4:5], v[6:7]
	s_branch .LBB1_2
.LBB1_17:
	s_endpgm
	.section	.rodata,"a",@progbits
	.p2align	6, 0x0
	.amdhsa_kernel _ZN2at6native12_GLOBAL__N_128conv_depthwise3d_cuda_kernelIddLin1ELin1ELin1ELi1ELi1ELi1EEEvN5torch10headeronly6detail27GenericPackedTensorAccessorINS5_14TensorAccessorIN3c108ArrayRefIlEEKT_Lm4ENS4_16DefaultPtrTraitsEiEENS_6detail16IndexBoundsCheckILm5EiEESC_Lm5ESD_iEENS6_INS7_ISA_SB_Lm4ESD_iEESH_SB_Lm5ESD_iEESI_PSC_iiiiiiiii
		.amdhsa_group_segment_fixed_size 0
		.amdhsa_private_segment_fixed_size 0
		.amdhsa_kernarg_size 448
		.amdhsa_user_sgpr_count 2
		.amdhsa_user_sgpr_dispatch_ptr 0
		.amdhsa_user_sgpr_queue_ptr 0
		.amdhsa_user_sgpr_kernarg_segment_ptr 1
		.amdhsa_user_sgpr_dispatch_id 0
		.amdhsa_user_sgpr_kernarg_preload_length 0
		.amdhsa_user_sgpr_kernarg_preload_offset 0
		.amdhsa_user_sgpr_private_segment_size 0
		.amdhsa_wavefront_size32 1
		.amdhsa_uses_dynamic_stack 0
		.amdhsa_enable_private_segment 0
		.amdhsa_system_sgpr_workgroup_id_x 1
		.amdhsa_system_sgpr_workgroup_id_y 0
		.amdhsa_system_sgpr_workgroup_id_z 0
		.amdhsa_system_sgpr_workgroup_info 0
		.amdhsa_system_vgpr_workitem_id 0
		.amdhsa_next_free_vgpr 24
		.amdhsa_next_free_sgpr 77
		.amdhsa_named_barrier_count 0
		.amdhsa_reserve_vcc 1
		.amdhsa_float_round_mode_32 0
		.amdhsa_float_round_mode_16_64 0
		.amdhsa_float_denorm_mode_32 3
		.amdhsa_float_denorm_mode_16_64 3
		.amdhsa_fp16_overflow 0
		.amdhsa_memory_ordered 1
		.amdhsa_forward_progress 1
		.amdhsa_inst_pref_size 16
		.amdhsa_round_robin_scheduling 0
		.amdhsa_exception_fp_ieee_invalid_op 0
		.amdhsa_exception_fp_denorm_src 0
		.amdhsa_exception_fp_ieee_div_zero 0
		.amdhsa_exception_fp_ieee_overflow 0
		.amdhsa_exception_fp_ieee_underflow 0
		.amdhsa_exception_fp_ieee_inexact 0
		.amdhsa_exception_int_div_zero 0
	.end_amdhsa_kernel
	.section	.text._ZN2at6native12_GLOBAL__N_128conv_depthwise3d_cuda_kernelIddLin1ELin1ELin1ELi1ELi1ELi1EEEvN5torch10headeronly6detail27GenericPackedTensorAccessorINS5_14TensorAccessorIN3c108ArrayRefIlEEKT_Lm4ENS4_16DefaultPtrTraitsEiEENS_6detail16IndexBoundsCheckILm5EiEESC_Lm5ESD_iEENS6_INS7_ISA_SB_Lm4ESD_iEESH_SB_Lm5ESD_iEESI_PSC_iiiiiiiii,"axG",@progbits,_ZN2at6native12_GLOBAL__N_128conv_depthwise3d_cuda_kernelIddLin1ELin1ELin1ELi1ELi1ELi1EEEvN5torch10headeronly6detail27GenericPackedTensorAccessorINS5_14TensorAccessorIN3c108ArrayRefIlEEKT_Lm4ENS4_16DefaultPtrTraitsEiEENS_6detail16IndexBoundsCheckILm5EiEESC_Lm5ESD_iEENS6_INS7_ISA_SB_Lm4ESD_iEESH_SB_Lm5ESD_iEESI_PSC_iiiiiiiii,comdat
.Lfunc_end1:
	.size	_ZN2at6native12_GLOBAL__N_128conv_depthwise3d_cuda_kernelIddLin1ELin1ELin1ELi1ELi1ELi1EEEvN5torch10headeronly6detail27GenericPackedTensorAccessorINS5_14TensorAccessorIN3c108ArrayRefIlEEKT_Lm4ENS4_16DefaultPtrTraitsEiEENS_6detail16IndexBoundsCheckILm5EiEESC_Lm5ESD_iEENS6_INS7_ISA_SB_Lm4ESD_iEESH_SB_Lm5ESD_iEESI_PSC_iiiiiiiii, .Lfunc_end1-_ZN2at6native12_GLOBAL__N_128conv_depthwise3d_cuda_kernelIddLin1ELin1ELin1ELi1ELi1ELi1EEEvN5torch10headeronly6detail27GenericPackedTensorAccessorINS5_14TensorAccessorIN3c108ArrayRefIlEEKT_Lm4ENS4_16DefaultPtrTraitsEiEENS_6detail16IndexBoundsCheckILm5EiEESC_Lm5ESD_iEENS6_INS7_ISA_SB_Lm4ESD_iEESH_SB_Lm5ESD_iEESI_PSC_iiiiiiiii
                                        ; -- End function
	.set _ZN2at6native12_GLOBAL__N_128conv_depthwise3d_cuda_kernelIddLin1ELin1ELin1ELi1ELi1ELi1EEEvN5torch10headeronly6detail27GenericPackedTensorAccessorINS5_14TensorAccessorIN3c108ArrayRefIlEEKT_Lm4ENS4_16DefaultPtrTraitsEiEENS_6detail16IndexBoundsCheckILm5EiEESC_Lm5ESD_iEENS6_INS7_ISA_SB_Lm4ESD_iEESH_SB_Lm5ESD_iEESI_PSC_iiiiiiiii.num_vgpr, 24
	.set _ZN2at6native12_GLOBAL__N_128conv_depthwise3d_cuda_kernelIddLin1ELin1ELin1ELi1ELi1ELi1EEEvN5torch10headeronly6detail27GenericPackedTensorAccessorINS5_14TensorAccessorIN3c108ArrayRefIlEEKT_Lm4ENS4_16DefaultPtrTraitsEiEENS_6detail16IndexBoundsCheckILm5EiEESC_Lm5ESD_iEENS6_INS7_ISA_SB_Lm4ESD_iEESH_SB_Lm5ESD_iEESI_PSC_iiiiiiiii.num_agpr, 0
	.set _ZN2at6native12_GLOBAL__N_128conv_depthwise3d_cuda_kernelIddLin1ELin1ELin1ELi1ELi1ELi1EEEvN5torch10headeronly6detail27GenericPackedTensorAccessorINS5_14TensorAccessorIN3c108ArrayRefIlEEKT_Lm4ENS4_16DefaultPtrTraitsEiEENS_6detail16IndexBoundsCheckILm5EiEESC_Lm5ESD_iEENS6_INS7_ISA_SB_Lm4ESD_iEESH_SB_Lm5ESD_iEESI_PSC_iiiiiiiii.numbered_sgpr, 77
	.set _ZN2at6native12_GLOBAL__N_128conv_depthwise3d_cuda_kernelIddLin1ELin1ELin1ELi1ELi1ELi1EEEvN5torch10headeronly6detail27GenericPackedTensorAccessorINS5_14TensorAccessorIN3c108ArrayRefIlEEKT_Lm4ENS4_16DefaultPtrTraitsEiEENS_6detail16IndexBoundsCheckILm5EiEESC_Lm5ESD_iEENS6_INS7_ISA_SB_Lm4ESD_iEESH_SB_Lm5ESD_iEESI_PSC_iiiiiiiii.num_named_barrier, 0
	.set _ZN2at6native12_GLOBAL__N_128conv_depthwise3d_cuda_kernelIddLin1ELin1ELin1ELi1ELi1ELi1EEEvN5torch10headeronly6detail27GenericPackedTensorAccessorINS5_14TensorAccessorIN3c108ArrayRefIlEEKT_Lm4ENS4_16DefaultPtrTraitsEiEENS_6detail16IndexBoundsCheckILm5EiEESC_Lm5ESD_iEENS6_INS7_ISA_SB_Lm4ESD_iEESH_SB_Lm5ESD_iEESI_PSC_iiiiiiiii.private_seg_size, 0
	.set _ZN2at6native12_GLOBAL__N_128conv_depthwise3d_cuda_kernelIddLin1ELin1ELin1ELi1ELi1ELi1EEEvN5torch10headeronly6detail27GenericPackedTensorAccessorINS5_14TensorAccessorIN3c108ArrayRefIlEEKT_Lm4ENS4_16DefaultPtrTraitsEiEENS_6detail16IndexBoundsCheckILm5EiEESC_Lm5ESD_iEENS6_INS7_ISA_SB_Lm4ESD_iEESH_SB_Lm5ESD_iEESI_PSC_iiiiiiiii.uses_vcc, 1
	.set _ZN2at6native12_GLOBAL__N_128conv_depthwise3d_cuda_kernelIddLin1ELin1ELin1ELi1ELi1ELi1EEEvN5torch10headeronly6detail27GenericPackedTensorAccessorINS5_14TensorAccessorIN3c108ArrayRefIlEEKT_Lm4ENS4_16DefaultPtrTraitsEiEENS_6detail16IndexBoundsCheckILm5EiEESC_Lm5ESD_iEENS6_INS7_ISA_SB_Lm4ESD_iEESH_SB_Lm5ESD_iEESI_PSC_iiiiiiiii.uses_flat_scratch, 0
	.set _ZN2at6native12_GLOBAL__N_128conv_depthwise3d_cuda_kernelIddLin1ELin1ELin1ELi1ELi1ELi1EEEvN5torch10headeronly6detail27GenericPackedTensorAccessorINS5_14TensorAccessorIN3c108ArrayRefIlEEKT_Lm4ENS4_16DefaultPtrTraitsEiEENS_6detail16IndexBoundsCheckILm5EiEESC_Lm5ESD_iEENS6_INS7_ISA_SB_Lm4ESD_iEESH_SB_Lm5ESD_iEESI_PSC_iiiiiiiii.has_dyn_sized_stack, 0
	.set _ZN2at6native12_GLOBAL__N_128conv_depthwise3d_cuda_kernelIddLin1ELin1ELin1ELi1ELi1ELi1EEEvN5torch10headeronly6detail27GenericPackedTensorAccessorINS5_14TensorAccessorIN3c108ArrayRefIlEEKT_Lm4ENS4_16DefaultPtrTraitsEiEENS_6detail16IndexBoundsCheckILm5EiEESC_Lm5ESD_iEENS6_INS7_ISA_SB_Lm4ESD_iEESH_SB_Lm5ESD_iEESI_PSC_iiiiiiiii.has_recursion, 0
	.set _ZN2at6native12_GLOBAL__N_128conv_depthwise3d_cuda_kernelIddLin1ELin1ELin1ELi1ELi1ELi1EEEvN5torch10headeronly6detail27GenericPackedTensorAccessorINS5_14TensorAccessorIN3c108ArrayRefIlEEKT_Lm4ENS4_16DefaultPtrTraitsEiEENS_6detail16IndexBoundsCheckILm5EiEESC_Lm5ESD_iEENS6_INS7_ISA_SB_Lm4ESD_iEESH_SB_Lm5ESD_iEESI_PSC_iiiiiiiii.has_indirect_call, 0
	.section	.AMDGPU.csdata,"",@progbits
; Kernel info:
; codeLenInByte = 1980
; TotalNumSgprs: 79
; NumVgprs: 24
; ScratchSize: 0
; MemoryBound: 1
; FloatMode: 240
; IeeeMode: 1
; LDSByteSize: 0 bytes/workgroup (compile time only)
; SGPRBlocks: 0
; VGPRBlocks: 1
; NumSGPRsForWavesPerEU: 79
; NumVGPRsForWavesPerEU: 24
; NamedBarCnt: 0
; Occupancy: 16
; WaveLimiterHint : 0
; COMPUTE_PGM_RSRC2:SCRATCH_EN: 0
; COMPUTE_PGM_RSRC2:USER_SGPR: 2
; COMPUTE_PGM_RSRC2:TRAP_HANDLER: 0
; COMPUTE_PGM_RSRC2:TGID_X_EN: 1
; COMPUTE_PGM_RSRC2:TGID_Y_EN: 0
; COMPUTE_PGM_RSRC2:TGID_Z_EN: 0
; COMPUTE_PGM_RSRC2:TIDIG_COMP_CNT: 0
	.section	.text._ZN2at6native12_GLOBAL__N_128conv_depthwise3d_cuda_kernelIddLin1ELin1ELin1ELin1ELin1ELin1EEEvN5torch10headeronly6detail27GenericPackedTensorAccessorINS5_14TensorAccessorIN3c108ArrayRefIlEEKT_Lm4ENS4_16DefaultPtrTraitsEiEENS_6detail16IndexBoundsCheckILm5EiEESC_Lm5ESD_iEENS6_INS7_ISA_SB_Lm4ESD_iEESH_SB_Lm5ESD_iEESI_PSC_iiiiiiiii,"axG",@progbits,_ZN2at6native12_GLOBAL__N_128conv_depthwise3d_cuda_kernelIddLin1ELin1ELin1ELin1ELin1ELin1EEEvN5torch10headeronly6detail27GenericPackedTensorAccessorINS5_14TensorAccessorIN3c108ArrayRefIlEEKT_Lm4ENS4_16DefaultPtrTraitsEiEENS_6detail16IndexBoundsCheckILm5EiEESC_Lm5ESD_iEENS6_INS7_ISA_SB_Lm4ESD_iEESH_SB_Lm5ESD_iEESI_PSC_iiiiiiiii,comdat
	.globl	_ZN2at6native12_GLOBAL__N_128conv_depthwise3d_cuda_kernelIddLin1ELin1ELin1ELin1ELin1ELin1EEEvN5torch10headeronly6detail27GenericPackedTensorAccessorINS5_14TensorAccessorIN3c108ArrayRefIlEEKT_Lm4ENS4_16DefaultPtrTraitsEiEENS_6detail16IndexBoundsCheckILm5EiEESC_Lm5ESD_iEENS6_INS7_ISA_SB_Lm4ESD_iEESH_SB_Lm5ESD_iEESI_PSC_iiiiiiiii ; -- Begin function _ZN2at6native12_GLOBAL__N_128conv_depthwise3d_cuda_kernelIddLin1ELin1ELin1ELin1ELin1ELin1EEEvN5torch10headeronly6detail27GenericPackedTensorAccessorINS5_14TensorAccessorIN3c108ArrayRefIlEEKT_Lm4ENS4_16DefaultPtrTraitsEiEENS_6detail16IndexBoundsCheckILm5EiEESC_Lm5ESD_iEENS6_INS7_ISA_SB_Lm4ESD_iEESH_SB_Lm5ESD_iEESI_PSC_iiiiiiiii
	.p2align	8
	.type	_ZN2at6native12_GLOBAL__N_128conv_depthwise3d_cuda_kernelIddLin1ELin1ELin1ELin1ELin1ELin1EEEvN5torch10headeronly6detail27GenericPackedTensorAccessorINS5_14TensorAccessorIN3c108ArrayRefIlEEKT_Lm4ENS4_16DefaultPtrTraitsEiEENS_6detail16IndexBoundsCheckILm5EiEESC_Lm5ESD_iEENS6_INS7_ISA_SB_Lm4ESD_iEESH_SB_Lm5ESD_iEESI_PSC_iiiiiiiii,@function
_ZN2at6native12_GLOBAL__N_128conv_depthwise3d_cuda_kernelIddLin1ELin1ELin1ELin1ELin1ELin1EEEvN5torch10headeronly6detail27GenericPackedTensorAccessorINS5_14TensorAccessorIN3c108ArrayRefIlEEKT_Lm4ENS4_16DefaultPtrTraitsEiEENS_6detail16IndexBoundsCheckILm5EiEESC_Lm5ESD_iEENS6_INS7_ISA_SB_Lm4ESD_iEESH_SB_Lm5ESD_iEESI_PSC_iiiiiiiii: ; @_ZN2at6native12_GLOBAL__N_128conv_depthwise3d_cuda_kernelIddLin1ELin1ELin1ELin1ELin1ELin1EEEvN5torch10headeronly6detail27GenericPackedTensorAccessorINS5_14TensorAccessorIN3c108ArrayRefIlEEKT_Lm4ENS4_16DefaultPtrTraitsEiEENS_6detail16IndexBoundsCheckILm5EiEESC_Lm5ESD_iEENS6_INS7_ISA_SB_Lm4ESD_iEESH_SB_Lm5ESD_iEESI_PSC_iiiiiiiii
; %bb.0:
	s_clause 0x2
	s_load_b128 s[12:15], s[0:1], 0xc
	s_load_b32 s2, s[0:1], 0xcc
	s_load_b64 s[34:35], s[0:1], 0x48
	s_bfe_u32 s3, ttmp6, 0x4000c
	s_load_b128 s[16:19], s[0:1], 0x38
	s_add_co_i32 s3, s3, 1
	s_and_b32 s4, ttmp6, 15
	s_mul_i32 s3, ttmp9, s3
	s_getreg_b32 s5, hwreg(HW_REG_IB_STS2, 6, 4)
	v_mov_b32_e32 v1, 0
	s_add_co_i32 s4, s4, s3
	s_mov_b32 s39, 0
	s_wait_kmcnt 0x0
	s_abs_i32 s24, s12
	s_and_b32 s2, s2, 0xffff
	s_cmp_eq_u32 s5, 0
	s_mul_i32 s36, s35, s16
	s_cselect_b32 s3, ttmp9, s4
	s_ashr_i32 s37, s36, 31
	v_mad_nc_u64_u32 v[2:3], s2, s3, v[0:1]
	s_cvt_f32_u32 s3, s24
	s_mov_b32 s4, exec_lo
	s_delay_alu instid0(SALU_CYCLE_2) | instskip(SKIP_1) | instid1(TRANS32_DEP_1)
	v_rcp_iflag_f32_e32 v0, s3
	v_nop
	v_readfirstlane_b32 s3, v0
	s_delay_alu instid0(VALU_DEP_3)
	v_cmpx_gt_i64_e64 s[36:37], v[2:3]
	s_cbranch_execz .LBB2_17
; %bb.1:
	s_mul_f32 s3, s3, 0x4f7ffffe
	s_sub_co_i32 s4, 0, s24
	s_abs_i32 s40, s17
	s_mov_b32 s41, s39
	s_cvt_u32_f32 s16, s3
	s_ashr_i32 s3, s17, 31
	s_ashr_i32 s12, s12, 31
	s_load_b32 s42, s[0:1], 0xb8
	s_mul_i32 s4, s4, s16
	s_xor_b32 s12, s3, s12
	s_mul_hi_u32 s20, s16, s4
	s_load_b256 s[4:11], s[0:1], 0x98
	s_add_co_i32 s38, s16, s20
	s_clause 0x1
	s_load_b128 s[20:23], s[0:1], 0x70
	s_load_b64 s[44:45], s[0:1], 0x90
	s_mul_u64 s[26:27], s[40:41], s[38:39]
	s_mov_b32 s59, s39
	s_mul_i32 s16, s27, s24
	s_add_co_i32 s25, s27, 1
	s_sub_co_i32 s16, s40, s16
	s_mov_b32 s65, s39
	s_sub_co_i32 s26, s16, s24
	s_cmp_ge_u32 s16, s24
	s_cselect_b32 s25, s25, s27
	s_cselect_b32 s16, s26, s16
	s_add_co_i32 s26, s25, 1
	s_cmp_ge_u32 s16, s24
	s_cselect_b32 s16, s26, s25
	s_add_nc_u64 s[24:25], s[0:1], 0xc0
	s_xor_b32 s16, s16, s12
	s_load_b32 s38, s[24:25], 0x0
	s_sub_co_i32 s64, s16, s12
	s_wait_kmcnt 0x0
	s_cmp_gt_i32 s20, 0
	s_mul_i32 s25, s14, s10
	s_cselect_b32 s12, -1, 0
	s_cmp_gt_i32 s21, 0
	s_mul_i32 s26, s21, s11
	s_cselect_b32 s16, -1, 0
	;; [unrolled: 3-line block ×3, first 2 shown]
	s_mul_i32 s27, s22, s42
	s_sub_co_i32 s25, s25, s26
	s_sub_co_i32 s46, s24, s27
	s_mul_i32 s48, s25, s15
	s_ashr_i32 s43, s42, 31
	s_ashr_i32 s47, s46, 31
	;; [unrolled: 1-line block ×3, first 2 shown]
	s_cmp_lg_u64 s[44:45], 0
	s_cselect_b32 s41, -1, 0
	s_abs_i32 s68, s34
	s_abs_i32 s69, s19
	s_cvt_f32_u32 s24, s68
	s_cvt_f32_u32 s28, s69
	s_abs_i32 s71, s18
	s_mul_i32 s38, s38, s2
	v_rcp_iflag_f32_e32 v0, s24
	v_rcp_iflag_f32_e32 v4, s28
	s_clause 0x5
	s_load_b64 s[50:51], s[0:1], 0x0
	s_load_b128 s[24:27], s[0:1], 0x1c
	s_load_b32 s70, s[0:1], 0x2c
	s_load_b64 s[52:53], s[0:1], 0x30
	s_load_b64 s[54:55], s[0:1], 0x60
	s_load_b128 s[28:31], s[0:1], 0x50
	s_cvt_f32_u32 s2, s71
	s_sub_co_i32 s57, 0, s68
	s_wait_xcnt 0x0
	s_cvt_f32_u32 s0, s40
	v_readfirstlane_b32 s56, v0
	v_rcp_iflag_f32_e32 v0, s2
	s_abs_i32 s73, s64
	s_sub_co_i32 s58, 0, s69
	s_sub_co_i32 s63, 0, s73
	s_mul_f32 s1, s56, 0x4f7ffffe
	v_readfirstlane_b32 s56, v4
	s_ashr_i32 s72, s34, 31
	s_ashr_i32 s74, s19, 31
	s_cvt_u32_f32 s1, s1
	s_ashr_i32 s75, s18, 31
	s_mul_f32 s2, s56, 0x4f7ffffe
	s_ashr_i32 s76, s64, 31
	s_mul_i32 s57, s57, s1
	s_lshl_b64 s[66:67], s[42:43], 3
	s_mul_hi_u32 s56, s1, s57
	s_cvt_u32_f32 s2, s2
	s_add_co_i32 s56, s1, s56
	v_readfirstlane_b32 s1, v0
	v_rcp_iflag_f32_e32 v0, s0
	s_mul_i32 s58, s58, s2
	s_mov_b32 s57, s39
	s_mul_hi_u32 s58, s2, s58
	s_mul_f32 s0, s1, 0x4f7ffffe
	s_cvt_f32_u32 s1, s73
	s_add_co_i32 s58, s2, s58
	s_sub_co_i32 s2, 0, s71
	s_cvt_u32_f32 s0, s0
	v_rcp_iflag_f32_e32 v4, s1
	v_nop
	v_readfirstlane_b32 s1, v0
	s_mov_b32 s43, s39
	s_mul_i32 s2, s2, s0
	s_delay_alu instid0(SALU_CYCLE_1)
	s_mul_hi_u32 s2, s0, s2
	s_mul_f32 s1, s1, 0x4f7ffffe
	v_readfirstlane_b32 s61, v4
	s_add_co_i32 s60, s0, s2
	s_sub_co_i32 s2, 0, s40
	s_cvt_u32_f32 s0, s1
	s_mul_f32 s1, s61, 0x4f7ffffe
	s_mov_b32 s61, s39
	s_delay_alu instid0(SALU_CYCLE_1) | instskip(NEXT) | instid1(SALU_CYCLE_1)
	s_mul_i32 s2, s2, s0
	s_cvt_u32_f32 s1, s1
	s_mul_hi_u32 s2, s0, s2
	s_delay_alu instid0(SALU_CYCLE_1) | instskip(NEXT) | instid1(SALU_CYCLE_1)
	s_add_co_i32 s62, s0, s2
	s_mul_i32 s0, s63, s1
	s_mov_b32 s63, s39
	s_mul_hi_u32 s0, s1, s0
	s_delay_alu instid0(SALU_CYCLE_1)
	s_add_co_i32 s64, s1, s0
	s_branch .LBB2_3
.LBB2_2:                                ;   in Loop: Header=BB2_3 Depth=1
	v_mul_lo_u32 v6, v13, s35
	s_wait_kmcnt 0x0
	v_mul_lo_u32 v8, s28, v14
	v_mul_lo_u32 v12, s29, v12
	s_wait_xcnt 0x0
	v_mul_lo_u32 v14, s30, v11
	v_mul_lo_u32 v10, s31, v10
	v_add_nc_u64_e32 v[2:3], s[38:39], v[2:3]
	v_dual_ashrrev_i32 v7, 31, v6 :: v_dual_ashrrev_i32 v9, 31, v8
	s_delay_alu instid0(VALU_DEP_4) | instskip(NEXT) | instid1(VALU_DEP_4)
	v_dual_ashrrev_i32 v13, 31, v12 :: v_dual_ashrrev_i32 v15, 31, v14
	v_ashrrev_i32_e32 v11, 31, v10
	s_delay_alu instid0(VALU_DEP_3) | instskip(SKIP_1) | instid1(VALU_DEP_2)
	v_lshl_add_u64 v[6:7], v[6:7], 3, s[52:53]
	v_cmp_le_i64_e32 vcc_lo, s[36:37], v[2:3]
	v_lshl_add_u64 v[6:7], v[8:9], 3, v[6:7]
	s_or_b32 s43, vcc_lo, s43
	s_delay_alu instid0(VALU_DEP_1) | instskip(NEXT) | instid1(VALU_DEP_1)
	v_lshl_add_u64 v[6:7], v[12:13], 3, v[6:7]
	v_lshl_add_u64 v[6:7], v[14:15], 3, v[6:7]
	s_delay_alu instid0(VALU_DEP_1)
	v_lshl_add_u64 v[6:7], v[10:11], 3, v[6:7]
	global_store_b64 v[6:7], v[4:5], off
	s_wait_xcnt 0x0
	s_and_not1_b32 exec_lo, exec_lo, s43
	s_cbranch_execz .LBB2_17
.LBB2_3:                                ; =>This Loop Header: Depth=1
                                        ;     Child Loop BB2_6 Depth 2
                                        ;       Child Loop BB2_9 Depth 3
                                        ;         Child Loop BB2_12 Depth 4
	v_sub_nc_u32_e32 v0, 0, v2
	s_delay_alu instid0(VALU_DEP_1) | instskip(NEXT) | instid1(VALU_DEP_1)
	v_max_i32_e32 v0, v2, v0
	v_mul_u64_e32 v[4:5], s[56:57], v[0:1]
	s_delay_alu instid0(VALU_DEP_1) | instskip(NEXT) | instid1(VALU_DEP_1)
	v_mul_lo_u32 v4, v5, s68
	v_dual_sub_nc_u32 v0, v0, v4 :: v_dual_add_nc_u32 v4, 1, v5
	s_delay_alu instid0(VALU_DEP_1) | instskip(NEXT) | instid1(VALU_DEP_2)
	v_cmp_le_u32_e32 vcc_lo, s68, v0
	v_cndmask_b32_e32 v4, v5, v4, vcc_lo
	v_subrev_nc_u32_e32 v6, s68, v0
	v_ashrrev_i32_e32 v5, 31, v2
	s_delay_alu instid0(VALU_DEP_2) | instskip(NEXT) | instid1(VALU_DEP_1)
	v_dual_cndmask_b32 v0, v0, v6, vcc_lo :: v_dual_add_nc_u32 v6, 1, v4
	v_cmp_le_u32_e32 vcc_lo, s68, v0
	s_delay_alu instid0(VALU_DEP_2) | instskip(NEXT) | instid1(VALU_DEP_1)
	v_dual_cndmask_b32 v0, v4, v6, vcc_lo :: v_dual_bitop2_b32 v5, s72, v5 bitop3:0x14
	v_xor_b32_e32 v0, v0, v5
	s_delay_alu instid0(VALU_DEP_1) | instskip(NEXT) | instid1(VALU_DEP_1)
	v_sub_nc_u32_e32 v6, v0, v5
	v_sub_nc_u32_e32 v0, 0, v6
	s_delay_alu instid0(VALU_DEP_1) | instskip(NEXT) | instid1(VALU_DEP_1)
	v_max_i32_e32 v0, v6, v0
	v_mul_u64_e32 v[4:5], s[58:59], v[0:1]
	s_delay_alu instid0(VALU_DEP_1) | instskip(NEXT) | instid1(VALU_DEP_1)
	v_mul_lo_u32 v4, v5, s69
	v_dual_sub_nc_u32 v0, v0, v4 :: v_dual_add_nc_u32 v4, 1, v5
	s_delay_alu instid0(VALU_DEP_1) | instskip(SKIP_1) | instid1(VALU_DEP_2)
	v_subrev_nc_u32_e32 v7, s69, v0
	v_cmp_le_u32_e32 vcc_lo, s69, v0
	v_dual_cndmask_b32 v4, v5, v4, vcc_lo :: v_dual_cndmask_b32 v0, v0, v7, vcc_lo
	s_delay_alu instid0(VALU_DEP_1) | instskip(NEXT) | instid1(VALU_DEP_2)
	v_dual_ashrrev_i32 v5, 31, v6 :: v_dual_add_nc_u32 v7, 1, v4
	v_cmp_le_u32_e32 vcc_lo, s69, v0
	s_delay_alu instid0(VALU_DEP_2) | instskip(NEXT) | instid1(VALU_DEP_1)
	v_dual_cndmask_b32 v0, v4, v7, vcc_lo :: v_dual_bitop2_b32 v5, s74, v5 bitop3:0x14
	v_xor_b32_e32 v0, v0, v5
	s_delay_alu instid0(VALU_DEP_1) | instskip(NEXT) | instid1(VALU_DEP_1)
	v_sub_nc_u32_e32 v7, v0, v5
	v_sub_nc_u32_e32 v0, 0, v7
	s_delay_alu instid0(VALU_DEP_1) | instskip(NEXT) | instid1(VALU_DEP_1)
	v_max_i32_e32 v0, v7, v0
	v_mul_u64_e32 v[4:5], s[60:61], v[0:1]
	s_delay_alu instid0(VALU_DEP_1) | instskip(NEXT) | instid1(VALU_DEP_1)
	v_mul_lo_u32 v4, v5, s71
	v_dual_sub_nc_u32 v0, v0, v4 :: v_dual_add_nc_u32 v4, 1, v5
	s_delay_alu instid0(VALU_DEP_1) | instskip(SKIP_1) | instid1(VALU_DEP_3)
	v_subrev_nc_u32_e32 v8, s71, v0
	v_cmp_le_u32_e32 vcc_lo, s71, v0
	v_dual_cndmask_b32 v4, v5, v4 :: v_dual_ashrrev_i32 v5, 31, v7
	s_delay_alu instid0(VALU_DEP_1) | instskip(NEXT) | instid1(VALU_DEP_2)
	v_dual_cndmask_b32 v0, v0, v8, vcc_lo :: v_dual_bitop2_b32 v5, s75, v5 bitop3:0x14
	v_add_nc_u32_e32 v8, 1, v4
	s_delay_alu instid0(VALU_DEP_2) | instskip(NEXT) | instid1(VALU_DEP_2)
	v_cmp_le_u32_e32 vcc_lo, s71, v0
	v_cndmask_b32_e32 v0, v4, v8, vcc_lo
	s_delay_alu instid0(VALU_DEP_1) | instskip(NEXT) | instid1(VALU_DEP_1)
	v_xor_b32_e32 v0, v0, v5
	v_sub_nc_u32_e32 v8, v0, v5
	s_delay_alu instid0(VALU_DEP_1) | instskip(NEXT) | instid1(VALU_DEP_1)
	v_sub_nc_u32_e32 v0, 0, v8
	v_max_i32_e32 v0, v8, v0
	s_delay_alu instid0(VALU_DEP_1) | instskip(NEXT) | instid1(VALU_DEP_1)
	v_mul_u64_e32 v[4:5], s[62:63], v[0:1]
	v_mul_lo_u32 v4, v5, s40
	s_delay_alu instid0(VALU_DEP_1) | instskip(NEXT) | instid1(VALU_DEP_1)
	v_dual_sub_nc_u32 v0, v0, v4 :: v_dual_add_nc_u32 v4, 1, v5
	v_subrev_nc_u32_e32 v9, s40, v0
	v_cmp_le_u32_e32 vcc_lo, s40, v0
	s_delay_alu instid0(VALU_DEP_2) | instskip(SKIP_1) | instid1(VALU_DEP_2)
	v_dual_cndmask_b32 v4, v5, v4, vcc_lo :: v_dual_cndmask_b32 v0, v0, v9, vcc_lo
	v_ashrrev_i32_e32 v5, 31, v8
	v_add_nc_u32_e32 v9, 1, v4
	s_delay_alu instid0(VALU_DEP_3) | instskip(NEXT) | instid1(VALU_DEP_3)
	v_cmp_le_u32_e32 vcc_lo, s40, v0
	v_xor_b32_e32 v5, s3, v5
	s_delay_alu instid0(VALU_DEP_3) | instskip(SKIP_2) | instid1(VALU_DEP_1)
	v_cndmask_b32_e32 v0, v4, v9, vcc_lo
	v_mul_lo_u32 v4, v7, s19
	s_and_not1_b32 vcc_lo, exec_lo, s12
	v_dual_sub_nc_u32 v11, v6, v4 :: v_dual_bitop2_b32 v0, v0, v5 bitop3:0x14
	s_delay_alu instid0(VALU_DEP_1) | instskip(SKIP_2) | instid1(VALU_DEP_2)
	v_sub_nc_u32_e32 v13, v0, v5
	v_mul_lo_u32 v0, v6, s34
	v_mul_lo_u32 v5, v8, s18
	v_sub_nc_u32_e32 v10, v2, v0
	s_delay_alu instid0(VALU_DEP_4) | instskip(NEXT) | instid1(VALU_DEP_3)
	v_mul_lo_u32 v9, v13, s17
	v_sub_nc_u32_e32 v12, v7, v5
	s_delay_alu instid0(VALU_DEP_2)
	v_sub_nc_u32_e32 v14, v8, v9
	s_cbranch_vccnz .LBB2_14
; %bb.4:                                ;   in Loop: Header=BB2_3 Depth=1
	s_delay_alu instid0(VALU_DEP_1)
	v_sub_nc_u32_e32 v0, 0, v14
	v_mul_lo_u32 v7, v11, s5
	v_mul_lo_u32 v9, v10, s6
	;; [unrolled: 1-line block ×3, first 2 shown]
	s_mov_b32 s77, 0
	v_max_i32_e32 v0, v14, v0
	s_delay_alu instid0(VALU_DEP_1) | instskip(SKIP_4) | instid1(VALU_DEP_3)
	v_mul_u64_e32 v[4:5], s[64:65], v[0:1]
	v_subrev_nc_u32_e32 v15, s8, v7
	v_subrev_nc_u32_e32 v16, s9, v9
	v_ashrrev_i32_e32 v21, 31, v20
	s_wait_kmcnt 0x0
	v_mul_lo_u32 v18, s27, v15
	s_delay_alu instid0(VALU_DEP_3) | instskip(NEXT) | instid1(VALU_DEP_2)
	v_mul_lo_u32 v22, s70, v16
	v_ashrrev_i32_e32 v19, 31, v18
	s_delay_alu instid0(VALU_DEP_2) | instskip(SKIP_1) | instid1(VALU_DEP_1)
	v_ashrrev_i32_e32 v23, 31, v22
	v_mul_lo_u32 v4, v5, s73
	v_dual_sub_nc_u32 v0, v0, v4 :: v_dual_add_nc_u32 v4, 1, v5
	s_delay_alu instid0(VALU_DEP_1) | instskip(NEXT) | instid1(VALU_DEP_2)
	v_cmp_le_u32_e32 vcc_lo, s73, v0
	v_cndmask_b32_e32 v4, v5, v4, vcc_lo
	v_subrev_nc_u32_e32 v6, s73, v0
	v_ashrrev_i32_e32 v5, 31, v14
	s_delay_alu instid0(VALU_DEP_2) | instskip(NEXT) | instid1(VALU_DEP_1)
	v_dual_cndmask_b32 v0, v0, v6, vcc_lo :: v_dual_add_nc_u32 v6, 1, v4
	v_cmp_le_u32_e32 vcc_lo, s73, v0
	s_delay_alu instid0(VALU_DEP_2) | instskip(SKIP_2) | instid1(VALU_DEP_3)
	v_dual_cndmask_b32 v0, v4, v6, vcc_lo :: v_dual_bitop2_b32 v5, s76, v5 bitop3:0x14
	v_mul_lo_u32 v6, v12, s4
	v_mul_lo_u32 v4, s24, v13
	v_xor_b32_e32 v0, v0, v5
	s_delay_alu instid0(VALU_DEP_1) | instskip(NEXT) | instid1(VALU_DEP_4)
	v_sub_nc_u32_e32 v5, v0, v5
	v_subrev_nc_u32_e32 v0, s7, v6
	s_delay_alu instid0(VALU_DEP_2) | instskip(SKIP_1) | instid1(VALU_DEP_3)
	v_mul_lo_u32 v6, s25, v5
	v_ashrrev_i32_e32 v5, 31, v4
	v_mul_lo_u32 v8, s26, v0
	s_delay_alu instid0(VALU_DEP_2) | instskip(NEXT) | instid1(VALU_DEP_2)
	v_lshl_add_u64 v[4:5], v[4:5], 3, s[50:51]
	v_dual_ashrrev_i32 v7, 31, v6 :: v_dual_ashrrev_i32 v9, 31, v8
	s_delay_alu instid0(VALU_DEP_1) | instskip(NEXT) | instid1(VALU_DEP_1)
	v_lshl_add_u64 v[4:5], v[6:7], 3, v[4:5]
	v_lshl_add_u64 v[4:5], v[8:9], 3, v[4:5]
	;; [unrolled: 1-line block ×3, first 2 shown]
	s_delay_alu instid0(VALU_DEP_2) | instskip(SKIP_1) | instid1(VALU_DEP_2)
	v_lshl_add_u64 v[6:7], v[18:19], 3, v[4:5]
	v_mov_b64_e32 v[4:5], 0
	v_lshl_add_u64 v[6:7], v[22:23], 3, v[6:7]
	s_branch .LBB2_6
.LBB2_5:                                ;   in Loop: Header=BB2_6 Depth=2
	s_delay_alu instid0(VALU_DEP_1) | instskip(SKIP_1) | instid1(SALU_CYCLE_1)
	v_lshl_add_u64 v[6:7], s[48:49], 3, v[6:7]
	s_add_co_i32 s77, s77, 1
	s_cmp_eq_u32 s77, s20
	s_cbranch_scc1 .LBB2_15
.LBB2_6:                                ;   Parent Loop BB2_3 Depth=1
                                        ; =>  This Loop Header: Depth=2
                                        ;       Child Loop BB2_9 Depth 3
                                        ;         Child Loop BB2_12 Depth 4
	s_and_not1_b32 vcc_lo, exec_lo, s16
	s_cbranch_vccnz .LBB2_5
; %bb.7:                                ;   in Loop: Header=BB2_6 Depth=2
	v_mad_u32 v17, s77, s10, v0
	s_mov_b32 s78, 0
	s_delay_alu instid0(VALU_DEP_1)
	v_cmp_lt_i32_e64 s0, -1, v17
	v_cmp_gt_i32_e64 s1, s13, v17
	s_branch .LBB2_9
.LBB2_8:                                ;   in Loop: Header=BB2_9 Depth=3
	s_delay_alu instid0(VALU_DEP_2) | instskip(SKIP_1) | instid1(SALU_CYCLE_1)
	v_lshl_add_u64 v[6:7], s[46:47], 3, v[6:7]
	s_add_co_i32 s78, s78, 1
	s_cmp_eq_u32 s78, s21
	s_cbranch_scc1 .LBB2_5
.LBB2_9:                                ;   Parent Loop BB2_3 Depth=1
                                        ;     Parent Loop BB2_6 Depth=2
                                        ; =>    This Loop Header: Depth=3
                                        ;         Child Loop BB2_12 Depth 4
	s_and_not1_b32 vcc_lo, exec_lo, s33
	s_cbranch_vccnz .LBB2_8
; %bb.10:                               ;   in Loop: Header=BB2_9 Depth=3
	v_mad_u32 v18, s78, s11, v15
	v_mov_b32_e32 v17, v16
	s_mov_b32 s80, s22
	s_delay_alu instid0(VALU_DEP_2)
	v_cmp_lt_i32_e64 s2, -1, v18
	v_cmp_gt_i32_e32 vcc_lo, s14, v18
	s_and_b32 s79, s0, s2
	s_branch .LBB2_12
.LBB2_11:                               ;   in Loop: Header=BB2_12 Depth=4
	s_wait_xcnt 0x0
	s_or_b32 exec_lo, exec_lo, s2
	v_add_nc_u64_e32 v[8:9], 8, v[8:9]
	v_add_nc_u64_e32 v[6:7], s[66:67], v[6:7]
	v_add_nc_u32_e32 v17, s42, v17
	s_add_co_i32 s80, s80, -1
	s_delay_alu instid0(SALU_CYCLE_1)
	s_cmp_eq_u32 s80, 0
	s_cbranch_scc1 .LBB2_8
.LBB2_12:                               ;   Parent Loop BB2_3 Depth=1
                                        ;     Parent Loop BB2_6 Depth=2
                                        ;       Parent Loop BB2_9 Depth=3
                                        ; =>      This Inner Loop Header: Depth=4
	s_delay_alu instid0(VALU_DEP_1) | instskip(SKIP_3) | instid1(SALU_CYCLE_1)
	v_cmp_lt_i32_e64 s2, -1, v17
	s_and_b32 s81, s79, s2
	v_cmp_gt_i32_e64 s2, s15, v17
	s_and_b32 s81, s81, s1
	s_and_b32 s81, s81, vcc_lo
	s_delay_alu instid0(SALU_CYCLE_1) | instskip(NEXT) | instid1(SALU_CYCLE_1)
	s_and_b32 s81, s81, s2
	s_and_saveexec_b32 s2, s81
	s_cbranch_execz .LBB2_11
; %bb.13:                               ;   in Loop: Header=BB2_12 Depth=4
	global_load_b64 v[18:19], v[8:9], off
	global_load_b64 v[20:21], v[6:7], off
	s_wait_loadcnt 0x0
	v_fmac_f64_e32 v[4:5], v[18:19], v[20:21]
	s_branch .LBB2_11
.LBB2_14:                               ;   in Loop: Header=BB2_3 Depth=1
	v_mov_b64_e32 v[4:5], 0
.LBB2_15:                               ;   in Loop: Header=BB2_3 Depth=1
	s_and_b32 vcc_lo, exec_lo, s41
	s_cbranch_vccz .LBB2_2
; %bb.16:                               ;   in Loop: Header=BB2_3 Depth=1
	global_load_b64 v[6:7], v14, s[44:45] scale_offset
	s_wait_loadcnt 0x0
	v_add_f64_e32 v[4:5], v[4:5], v[6:7]
	s_branch .LBB2_2
.LBB2_17:
	s_endpgm
	.section	.rodata,"a",@progbits
	.p2align	6, 0x0
	.amdhsa_kernel _ZN2at6native12_GLOBAL__N_128conv_depthwise3d_cuda_kernelIddLin1ELin1ELin1ELin1ELin1ELin1EEEvN5torch10headeronly6detail27GenericPackedTensorAccessorINS5_14TensorAccessorIN3c108ArrayRefIlEEKT_Lm4ENS4_16DefaultPtrTraitsEiEENS_6detail16IndexBoundsCheckILm5EiEESC_Lm5ESD_iEENS6_INS7_ISA_SB_Lm4ESD_iEESH_SB_Lm5ESD_iEESI_PSC_iiiiiiiii
		.amdhsa_group_segment_fixed_size 0
		.amdhsa_private_segment_fixed_size 0
		.amdhsa_kernarg_size 448
		.amdhsa_user_sgpr_count 2
		.amdhsa_user_sgpr_dispatch_ptr 0
		.amdhsa_user_sgpr_queue_ptr 0
		.amdhsa_user_sgpr_kernarg_segment_ptr 1
		.amdhsa_user_sgpr_dispatch_id 0
		.amdhsa_user_sgpr_kernarg_preload_length 0
		.amdhsa_user_sgpr_kernarg_preload_offset 0
		.amdhsa_user_sgpr_private_segment_size 0
		.amdhsa_wavefront_size32 1
		.amdhsa_uses_dynamic_stack 0
		.amdhsa_enable_private_segment 0
		.amdhsa_system_sgpr_workgroup_id_x 1
		.amdhsa_system_sgpr_workgroup_id_y 0
		.amdhsa_system_sgpr_workgroup_id_z 0
		.amdhsa_system_sgpr_workgroup_info 0
		.amdhsa_system_vgpr_workitem_id 0
		.amdhsa_next_free_vgpr 24
		.amdhsa_next_free_sgpr 82
		.amdhsa_named_barrier_count 0
		.amdhsa_reserve_vcc 1
		.amdhsa_float_round_mode_32 0
		.amdhsa_float_round_mode_16_64 0
		.amdhsa_float_denorm_mode_32 3
		.amdhsa_float_denorm_mode_16_64 3
		.amdhsa_fp16_overflow 0
		.amdhsa_memory_ordered 1
		.amdhsa_forward_progress 1
		.amdhsa_inst_pref_size 16
		.amdhsa_round_robin_scheduling 0
		.amdhsa_exception_fp_ieee_invalid_op 0
		.amdhsa_exception_fp_denorm_src 0
		.amdhsa_exception_fp_ieee_div_zero 0
		.amdhsa_exception_fp_ieee_overflow 0
		.amdhsa_exception_fp_ieee_underflow 0
		.amdhsa_exception_fp_ieee_inexact 0
		.amdhsa_exception_int_div_zero 0
	.end_amdhsa_kernel
	.section	.text._ZN2at6native12_GLOBAL__N_128conv_depthwise3d_cuda_kernelIddLin1ELin1ELin1ELin1ELin1ELin1EEEvN5torch10headeronly6detail27GenericPackedTensorAccessorINS5_14TensorAccessorIN3c108ArrayRefIlEEKT_Lm4ENS4_16DefaultPtrTraitsEiEENS_6detail16IndexBoundsCheckILm5EiEESC_Lm5ESD_iEENS6_INS7_ISA_SB_Lm4ESD_iEESH_SB_Lm5ESD_iEESI_PSC_iiiiiiiii,"axG",@progbits,_ZN2at6native12_GLOBAL__N_128conv_depthwise3d_cuda_kernelIddLin1ELin1ELin1ELin1ELin1ELin1EEEvN5torch10headeronly6detail27GenericPackedTensorAccessorINS5_14TensorAccessorIN3c108ArrayRefIlEEKT_Lm4ENS4_16DefaultPtrTraitsEiEENS_6detail16IndexBoundsCheckILm5EiEESC_Lm5ESD_iEENS6_INS7_ISA_SB_Lm4ESD_iEESH_SB_Lm5ESD_iEESI_PSC_iiiiiiiii,comdat
.Lfunc_end2:
	.size	_ZN2at6native12_GLOBAL__N_128conv_depthwise3d_cuda_kernelIddLin1ELin1ELin1ELin1ELin1ELin1EEEvN5torch10headeronly6detail27GenericPackedTensorAccessorINS5_14TensorAccessorIN3c108ArrayRefIlEEKT_Lm4ENS4_16DefaultPtrTraitsEiEENS_6detail16IndexBoundsCheckILm5EiEESC_Lm5ESD_iEENS6_INS7_ISA_SB_Lm4ESD_iEESH_SB_Lm5ESD_iEESI_PSC_iiiiiiiii, .Lfunc_end2-_ZN2at6native12_GLOBAL__N_128conv_depthwise3d_cuda_kernelIddLin1ELin1ELin1ELin1ELin1ELin1EEEvN5torch10headeronly6detail27GenericPackedTensorAccessorINS5_14TensorAccessorIN3c108ArrayRefIlEEKT_Lm4ENS4_16DefaultPtrTraitsEiEENS_6detail16IndexBoundsCheckILm5EiEESC_Lm5ESD_iEENS6_INS7_ISA_SB_Lm4ESD_iEESH_SB_Lm5ESD_iEESI_PSC_iiiiiiiii
                                        ; -- End function
	.set _ZN2at6native12_GLOBAL__N_128conv_depthwise3d_cuda_kernelIddLin1ELin1ELin1ELin1ELin1ELin1EEEvN5torch10headeronly6detail27GenericPackedTensorAccessorINS5_14TensorAccessorIN3c108ArrayRefIlEEKT_Lm4ENS4_16DefaultPtrTraitsEiEENS_6detail16IndexBoundsCheckILm5EiEESC_Lm5ESD_iEENS6_INS7_ISA_SB_Lm4ESD_iEESH_SB_Lm5ESD_iEESI_PSC_iiiiiiiii.num_vgpr, 24
	.set _ZN2at6native12_GLOBAL__N_128conv_depthwise3d_cuda_kernelIddLin1ELin1ELin1ELin1ELin1ELin1EEEvN5torch10headeronly6detail27GenericPackedTensorAccessorINS5_14TensorAccessorIN3c108ArrayRefIlEEKT_Lm4ENS4_16DefaultPtrTraitsEiEENS_6detail16IndexBoundsCheckILm5EiEESC_Lm5ESD_iEENS6_INS7_ISA_SB_Lm4ESD_iEESH_SB_Lm5ESD_iEESI_PSC_iiiiiiiii.num_agpr, 0
	.set _ZN2at6native12_GLOBAL__N_128conv_depthwise3d_cuda_kernelIddLin1ELin1ELin1ELin1ELin1ELin1EEEvN5torch10headeronly6detail27GenericPackedTensorAccessorINS5_14TensorAccessorIN3c108ArrayRefIlEEKT_Lm4ENS4_16DefaultPtrTraitsEiEENS_6detail16IndexBoundsCheckILm5EiEESC_Lm5ESD_iEENS6_INS7_ISA_SB_Lm4ESD_iEESH_SB_Lm5ESD_iEESI_PSC_iiiiiiiii.numbered_sgpr, 82
	.set _ZN2at6native12_GLOBAL__N_128conv_depthwise3d_cuda_kernelIddLin1ELin1ELin1ELin1ELin1ELin1EEEvN5torch10headeronly6detail27GenericPackedTensorAccessorINS5_14TensorAccessorIN3c108ArrayRefIlEEKT_Lm4ENS4_16DefaultPtrTraitsEiEENS_6detail16IndexBoundsCheckILm5EiEESC_Lm5ESD_iEENS6_INS7_ISA_SB_Lm4ESD_iEESH_SB_Lm5ESD_iEESI_PSC_iiiiiiiii.num_named_barrier, 0
	.set _ZN2at6native12_GLOBAL__N_128conv_depthwise3d_cuda_kernelIddLin1ELin1ELin1ELin1ELin1ELin1EEEvN5torch10headeronly6detail27GenericPackedTensorAccessorINS5_14TensorAccessorIN3c108ArrayRefIlEEKT_Lm4ENS4_16DefaultPtrTraitsEiEENS_6detail16IndexBoundsCheckILm5EiEESC_Lm5ESD_iEENS6_INS7_ISA_SB_Lm4ESD_iEESH_SB_Lm5ESD_iEESI_PSC_iiiiiiiii.private_seg_size, 0
	.set _ZN2at6native12_GLOBAL__N_128conv_depthwise3d_cuda_kernelIddLin1ELin1ELin1ELin1ELin1ELin1EEEvN5torch10headeronly6detail27GenericPackedTensorAccessorINS5_14TensorAccessorIN3c108ArrayRefIlEEKT_Lm4ENS4_16DefaultPtrTraitsEiEENS_6detail16IndexBoundsCheckILm5EiEESC_Lm5ESD_iEENS6_INS7_ISA_SB_Lm4ESD_iEESH_SB_Lm5ESD_iEESI_PSC_iiiiiiiii.uses_vcc, 1
	.set _ZN2at6native12_GLOBAL__N_128conv_depthwise3d_cuda_kernelIddLin1ELin1ELin1ELin1ELin1ELin1EEEvN5torch10headeronly6detail27GenericPackedTensorAccessorINS5_14TensorAccessorIN3c108ArrayRefIlEEKT_Lm4ENS4_16DefaultPtrTraitsEiEENS_6detail16IndexBoundsCheckILm5EiEESC_Lm5ESD_iEENS6_INS7_ISA_SB_Lm4ESD_iEESH_SB_Lm5ESD_iEESI_PSC_iiiiiiiii.uses_flat_scratch, 0
	.set _ZN2at6native12_GLOBAL__N_128conv_depthwise3d_cuda_kernelIddLin1ELin1ELin1ELin1ELin1ELin1EEEvN5torch10headeronly6detail27GenericPackedTensorAccessorINS5_14TensorAccessorIN3c108ArrayRefIlEEKT_Lm4ENS4_16DefaultPtrTraitsEiEENS_6detail16IndexBoundsCheckILm5EiEESC_Lm5ESD_iEENS6_INS7_ISA_SB_Lm4ESD_iEESH_SB_Lm5ESD_iEESI_PSC_iiiiiiiii.has_dyn_sized_stack, 0
	.set _ZN2at6native12_GLOBAL__N_128conv_depthwise3d_cuda_kernelIddLin1ELin1ELin1ELin1ELin1ELin1EEEvN5torch10headeronly6detail27GenericPackedTensorAccessorINS5_14TensorAccessorIN3c108ArrayRefIlEEKT_Lm4ENS4_16DefaultPtrTraitsEiEENS_6detail16IndexBoundsCheckILm5EiEESC_Lm5ESD_iEENS6_INS7_ISA_SB_Lm4ESD_iEESH_SB_Lm5ESD_iEESI_PSC_iiiiiiiii.has_recursion, 0
	.set _ZN2at6native12_GLOBAL__N_128conv_depthwise3d_cuda_kernelIddLin1ELin1ELin1ELin1ELin1ELin1EEEvN5torch10headeronly6detail27GenericPackedTensorAccessorINS5_14TensorAccessorIN3c108ArrayRefIlEEKT_Lm4ENS4_16DefaultPtrTraitsEiEENS_6detail16IndexBoundsCheckILm5EiEESC_Lm5ESD_iEENS6_INS7_ISA_SB_Lm4ESD_iEESH_SB_Lm5ESD_iEESI_PSC_iiiiiiiii.has_indirect_call, 0
	.section	.AMDGPU.csdata,"",@progbits
; Kernel info:
; codeLenInByte = 2000
; TotalNumSgprs: 84
; NumVgprs: 24
; ScratchSize: 0
; MemoryBound: 1
; FloatMode: 240
; IeeeMode: 1
; LDSByteSize: 0 bytes/workgroup (compile time only)
; SGPRBlocks: 0
; VGPRBlocks: 1
; NumSGPRsForWavesPerEU: 84
; NumVGPRsForWavesPerEU: 24
; NamedBarCnt: 0
; Occupancy: 16
; WaveLimiterHint : 0
; COMPUTE_PGM_RSRC2:SCRATCH_EN: 0
; COMPUTE_PGM_RSRC2:USER_SGPR: 2
; COMPUTE_PGM_RSRC2:TRAP_HANDLER: 0
; COMPUTE_PGM_RSRC2:TGID_X_EN: 1
; COMPUTE_PGM_RSRC2:TGID_Y_EN: 0
; COMPUTE_PGM_RSRC2:TGID_Z_EN: 0
; COMPUTE_PGM_RSRC2:TIDIG_COMP_CNT: 0
	.section	.text._ZN2at6native12_GLOBAL__N_128conv_depthwise3d_cuda_kernelIffLi3ELi3ELi3ELi1ELi1ELi1EEEvN5torch10headeronly6detail27GenericPackedTensorAccessorINS5_14TensorAccessorIN3c108ArrayRefIlEEKT_Lm4ENS4_16DefaultPtrTraitsEiEENS_6detail16IndexBoundsCheckILm5EiEESC_Lm5ESD_iEENS6_INS7_ISA_SB_Lm4ESD_iEESH_SB_Lm5ESD_iEESI_PSC_iiiiiiiii,"axG",@progbits,_ZN2at6native12_GLOBAL__N_128conv_depthwise3d_cuda_kernelIffLi3ELi3ELi3ELi1ELi1ELi1EEEvN5torch10headeronly6detail27GenericPackedTensorAccessorINS5_14TensorAccessorIN3c108ArrayRefIlEEKT_Lm4ENS4_16DefaultPtrTraitsEiEENS_6detail16IndexBoundsCheckILm5EiEESC_Lm5ESD_iEENS6_INS7_ISA_SB_Lm4ESD_iEESH_SB_Lm5ESD_iEESI_PSC_iiiiiiiii,comdat
	.globl	_ZN2at6native12_GLOBAL__N_128conv_depthwise3d_cuda_kernelIffLi3ELi3ELi3ELi1ELi1ELi1EEEvN5torch10headeronly6detail27GenericPackedTensorAccessorINS5_14TensorAccessorIN3c108ArrayRefIlEEKT_Lm4ENS4_16DefaultPtrTraitsEiEENS_6detail16IndexBoundsCheckILm5EiEESC_Lm5ESD_iEENS6_INS7_ISA_SB_Lm4ESD_iEESH_SB_Lm5ESD_iEESI_PSC_iiiiiiiii ; -- Begin function _ZN2at6native12_GLOBAL__N_128conv_depthwise3d_cuda_kernelIffLi3ELi3ELi3ELi1ELi1ELi1EEEvN5torch10headeronly6detail27GenericPackedTensorAccessorINS5_14TensorAccessorIN3c108ArrayRefIlEEKT_Lm4ENS4_16DefaultPtrTraitsEiEENS_6detail16IndexBoundsCheckILm5EiEESC_Lm5ESD_iEENS6_INS7_ISA_SB_Lm4ESD_iEESH_SB_Lm5ESD_iEESI_PSC_iiiiiiiii
	.p2align	8
	.type	_ZN2at6native12_GLOBAL__N_128conv_depthwise3d_cuda_kernelIffLi3ELi3ELi3ELi1ELi1ELi1EEEvN5torch10headeronly6detail27GenericPackedTensorAccessorINS5_14TensorAccessorIN3c108ArrayRefIlEEKT_Lm4ENS4_16DefaultPtrTraitsEiEENS_6detail16IndexBoundsCheckILm5EiEESC_Lm5ESD_iEENS6_INS7_ISA_SB_Lm4ESD_iEESH_SB_Lm5ESD_iEESI_PSC_iiiiiiiii,@function
_ZN2at6native12_GLOBAL__N_128conv_depthwise3d_cuda_kernelIffLi3ELi3ELi3ELi1ELi1ELi1EEEvN5torch10headeronly6detail27GenericPackedTensorAccessorINS5_14TensorAccessorIN3c108ArrayRefIlEEKT_Lm4ENS4_16DefaultPtrTraitsEiEENS_6detail16IndexBoundsCheckILm5EiEESC_Lm5ESD_iEENS6_INS7_ISA_SB_Lm4ESD_iEESH_SB_Lm5ESD_iEESI_PSC_iiiiiiiii: ; @_ZN2at6native12_GLOBAL__N_128conv_depthwise3d_cuda_kernelIffLi3ELi3ELi3ELi1ELi1ELi1EEEvN5torch10headeronly6detail27GenericPackedTensorAccessorINS5_14TensorAccessorIN3c108ArrayRefIlEEKT_Lm4ENS4_16DefaultPtrTraitsEiEENS_6detail16IndexBoundsCheckILm5EiEESC_Lm5ESD_iEENS6_INS7_ISA_SB_Lm4ESD_iEESH_SB_Lm5ESD_iEESI_PSC_iiiiiiiii
; %bb.0:
	s_clause 0x3
	s_load_b128 s[12:15], s[0:1], 0xc
	s_load_b32 s4, s[0:1], 0xcc
	s_load_b64 s[34:35], s[0:1], 0x48
	s_load_b128 s[16:19], s[0:1], 0x38
	s_bfe_u32 s2, ttmp6, 0x4000c
	s_and_b32 s3, ttmp6, 15
	s_add_co_i32 s2, s2, 1
	s_getreg_b32 s5, hwreg(HW_REG_IB_STS2, 6, 4)
	s_mul_i32 s2, ttmp9, s2
	s_mov_b32 s37, 0
	s_add_co_i32 s2, s3, s2
	v_mov_b32_e32 v1, 0
	s_mov_b32 s3, s37
	s_wait_kmcnt 0x0
	s_abs_i32 s6, s12
	s_cmp_eq_u32 s5, 0
	s_cvt_f32_u32 s7, s6
	s_cselect_b32 s2, ttmp9, s2
	s_and_b32 s4, s4, 0xffff
	s_mov_b32 s5, s37
	v_rcp_iflag_f32_e32 v4, s7
	s_mul_u64 s[38:39], s[4:5], s[2:3]
	s_mul_i32 s40, s35, s16
	v_add_nc_u64_e32 v[2:3], s[38:39], v[0:1]
	s_ashr_i32 s41, s40, 31
	s_mov_b32 s5, exec_lo
	s_delay_alu instid0(TRANS32_DEP_1) | instskip(NEXT) | instid1(VALU_DEP_2)
	v_readfirstlane_b32 s3, v4
	v_cmpx_gt_i64_e64 s[40:41], v[2:3]
	s_cbranch_execz .LBB3_59
; %bb.1:
	s_mul_f32 s3, s3, 0x4f7ffffe
	s_sub_co_i32 s5, 0, s6
	s_abs_i32 s42, s17
	s_mov_b32 s43, s37
	s_cvt_u32_f32 s3, s3
	s_clause 0x1
	s_load_b64 s[44:45], s[0:1], 0x90
	s_load_b32 s33, s[0:1], 0x7c
	s_ashr_i32 s16, s17, 31
	s_mul_i32 s5, s5, s3
	s_add_nc_u64 s[10:11], s[0:1], 0xc0
	s_mul_hi_u32 s5, s3, s5
	s_mov_b32 s46, s15
	s_add_co_i32 s36, s3, s5
	s_ashr_i32 s3, s12, 31
	s_mul_u64 s[8:9], s[42:43], s[36:37]
	s_xor_b32 s3, s16, s3
	s_mul_i32 s5, s9, s6
	s_add_co_i32 s7, s9, 1
	s_sub_co_i32 s5, s42, s5
	s_mov_b32 s59, s37
	s_sub_co_i32 s8, s5, s6
	s_cmp_ge_u32 s5, s6
	s_mov_b32 s61, s37
	s_cselect_b32 s7, s7, s9
	s_cselect_b32 s5, s8, s5
	s_add_co_i32 s8, s7, 1
	s_cmp_ge_u32 s5, s6
	s_mov_b32 s63, s37
	s_cselect_b32 s5, s8, s7
	s_add_co_i32 s6, s14, -3
	s_xor_b32 s5, s5, s3
	s_mul_i32 s48, s15, s6
	s_ashr_i32 s47, s15, 31
	s_sub_co_i32 s3, s5, s3
	s_ashr_i32 s49, s48, 31
	s_wait_kmcnt 0x0
	s_cmp_lg_u64 s[44:45], 0
	s_load_b32 s5, s[10:11], 0x0
	s_cselect_b32 s43, -1, 0
	s_abs_i32 s68, s34
	s_abs_i32 s69, s19
	s_cvt_f32_u32 s6, s68
	s_abs_i32 s71, s18
	s_clause 0x3
	s_load_b128 s[20:23], s[0:1], 0x98
	s_load_b64 s[50:51], s[0:1], 0xa8
	s_load_b64 s[52:53], s[0:1], 0x0
	s_load_b128 s[24:27], s[0:1], 0x1c
	v_rcp_iflag_f32_e32 v2, s6
	s_cvt_f32_u32 s6, s69
	s_clause 0x3
	s_load_b32 s70, s[0:1], 0x2c
	s_load_b64 s[54:55], s[0:1], 0x30
	s_load_b64 s[56:57], s[0:1], 0x60
	s_load_b128 s[28:31], s[0:1], 0x50
	s_sub_co_i32 s7, 0, s68
	v_rcp_iflag_f32_e32 v3, s6
	s_wait_xcnt 0x0
	s_cvt_f32_u32 s0, s42
	v_nop
	v_readfirstlane_b32 s6, v2
	s_abs_i32 s73, s3
	s_ashr_i32 s72, s34, 31
	s_ashr_i32 s74, s19, 31
	;; [unrolled: 1-line block ×3, first 2 shown]
	s_mul_f32 s1, s6, 0x4f7ffffe
	s_wait_kmcnt 0x0
	s_mul_i32 s36, s5, s4
	s_cvt_f32_u32 s5, s71
	v_readfirstlane_b32 s6, v3
	s_cvt_u32_f32 s1, s1
	s_mov_b32 s65, s37
	v_rcp_iflag_f32_e32 v2, s5
	s_ashr_i32 s76, s3, 31
	s_mul_i32 s7, s7, s1
	s_mul_f32 s5, s6, 0x4f7ffffe
	s_mul_hi_u32 s7, s1, s7
	s_sub_co_i32 s6, 0, s69
	s_add_co_i32 s58, s1, s7
	v_nop
	v_readfirstlane_b32 s1, v2
	v_rcp_iflag_f32_e32 v2, s0
	s_cvt_u32_f32 s5, s5
	s_mov_b32 s67, s37
	s_mul_i32 s77, s2, s4
	s_mul_f32 s0, s1, 0x4f7ffffe
	s_cvt_f32_u32 s1, s73
	s_mul_i32 s6, s6, s5
	s_mov_b32 s78, s37
	s_mul_hi_u32 s6, s5, s6
	v_rcp_iflag_f32_e32 v3, s1
	v_nop
	v_readfirstlane_b32 s1, v2
	s_cvt_u32_f32 s0, s0
	s_add_co_i32 s60, s5, s6
	s_sub_co_i32 s5, 0, s71
	s_delay_alu instid0(SALU_CYCLE_1)
	s_mul_i32 s5, s5, s0
	v_readfirstlane_b32 s6, v3
	s_mul_f32 s1, s1, 0x4f7ffffe
	s_mul_hi_u32 s5, s0, s5
	v_mov_b64_e32 v[2:3], v[0:1]
	s_add_co_i32 s62, s0, s5
	s_cvt_u32_f32 s0, s1
	s_mul_f32 s1, s6, 0x4f7ffffe
	s_sub_co_i32 s5, 0, s42
	s_sub_co_i32 s6, 0, s73
	s_mul_i32 s5, s5, s0
	s_cvt_u32_f32 s1, s1
	s_mul_hi_u32 s5, s0, s5
	s_delay_alu instid0(SALU_CYCLE_1) | instskip(NEXT) | instid1(SALU_CYCLE_1)
	s_add_co_i32 s64, s0, s5
	s_mul_i32 s6, s6, s1
	s_delay_alu instid0(SALU_CYCLE_1) | instskip(NEXT) | instid1(SALU_CYCLE_1)
	s_mul_hi_u32 s0, s1, s6
	s_add_co_i32 s66, s1, s0
	s_branch .LBB3_3
.LBB3_2:                                ;   in Loop: Header=BB3_3 Depth=1
	v_mul_lo_u32 v4, v9, s35
	v_mul_lo_u32 v6, s28, v8
	s_wait_xcnt 0x0
	v_mul_lo_u32 v8, s29, v11
	v_mul_lo_u32 v10, s30, v10
	v_add_nc_u64_e32 v[2:3], s[36:37], v[2:3]
	v_mul_lo_u32 v14, s31, v0
	v_dual_ashrrev_i32 v5, 31, v4 :: v_dual_ashrrev_i32 v7, 31, v6
	s_delay_alu instid0(VALU_DEP_4) | instskip(NEXT) | instid1(VALU_DEP_3)
	v_dual_ashrrev_i32 v9, 31, v8 :: v_dual_ashrrev_i32 v11, 31, v10
	v_ashrrev_i32_e32 v15, 31, v14
	s_delay_alu instid0(VALU_DEP_3) | instskip(NEXT) | instid1(VALU_DEP_1)
	v_lshl_add_u64 v[4:5], v[4:5], 2, s[54:55]
	v_lshl_add_u64 v[4:5], v[6:7], 2, v[4:5]
	v_add_nc_u64_e32 v[6:7], s[38:39], v[2:3]
	s_delay_alu instid0(VALU_DEP_2) | instskip(NEXT) | instid1(VALU_DEP_2)
	v_lshl_add_u64 v[4:5], v[8:9], 2, v[4:5]
	v_cmp_le_i64_e32 vcc_lo, s[40:41], v[6:7]
	s_delay_alu instid0(VALU_DEP_2) | instskip(SKIP_1) | instid1(VALU_DEP_1)
	v_lshl_add_u64 v[4:5], v[10:11], 2, v[4:5]
	s_or_b32 s78, vcc_lo, s78
	v_lshl_add_u64 v[4:5], v[14:15], 2, v[4:5]
	global_store_b32 v[4:5], v12, off
	s_wait_xcnt 0x0
	s_and_not1_b32 exec_lo, exec_lo, s78
	s_cbranch_execz .LBB3_59
.LBB3_3:                                ; =>This Inner Loop Header: Depth=1
	v_add_nc_u32_e32 v6, s77, v2
	s_delay_alu instid0(VALU_DEP_1) | instskip(NEXT) | instid1(VALU_DEP_1)
	v_sub_nc_u32_e32 v0, 0, v6
	v_max_i32_e32 v0, v6, v0
	s_delay_alu instid0(VALU_DEP_1) | instskip(NEXT) | instid1(VALU_DEP_1)
	v_mul_u64_e32 v[4:5], s[58:59], v[0:1]
	v_mul_lo_u32 v4, v5, s68
	s_delay_alu instid0(VALU_DEP_1) | instskip(NEXT) | instid1(VALU_DEP_1)
	v_dual_sub_nc_u32 v0, v0, v4 :: v_dual_add_nc_u32 v4, 1, v5
	v_subrev_nc_u32_e32 v7, s68, v0
	v_cmp_le_u32_e32 vcc_lo, s68, v0
	s_delay_alu instid0(VALU_DEP_2) | instskip(NEXT) | instid1(VALU_DEP_1)
	v_dual_cndmask_b32 v4, v5, v4, vcc_lo :: v_dual_cndmask_b32 v0, v0, v7, vcc_lo
	v_dual_ashrrev_i32 v5, 31, v6 :: v_dual_add_nc_u32 v7, 1, v4
	s_delay_alu instid0(VALU_DEP_2) | instskip(NEXT) | instid1(VALU_DEP_2)
	v_cmp_le_u32_e32 vcc_lo, s68, v0
	v_dual_cndmask_b32 v0, v4, v7, vcc_lo :: v_dual_bitop2_b32 v5, s72, v5 bitop3:0x14
	s_delay_alu instid0(VALU_DEP_1) | instskip(NEXT) | instid1(VALU_DEP_1)
	v_xor_b32_e32 v0, v0, v5
	v_sub_nc_u32_e32 v7, v0, v5
	s_delay_alu instid0(VALU_DEP_1) | instskip(NEXT) | instid1(VALU_DEP_1)
	v_sub_nc_u32_e32 v0, 0, v7
	v_max_i32_e32 v0, v7, v0
	s_delay_alu instid0(VALU_DEP_1) | instskip(NEXT) | instid1(VALU_DEP_1)
	v_mul_u64_e32 v[4:5], s[60:61], v[0:1]
	v_mul_lo_u32 v4, v5, s69
	s_delay_alu instid0(VALU_DEP_1) | instskip(NEXT) | instid1(VALU_DEP_1)
	v_dual_sub_nc_u32 v0, v0, v4 :: v_dual_add_nc_u32 v4, 1, v5
	v_subrev_nc_u32_e32 v8, s69, v0
	v_cmp_le_u32_e32 vcc_lo, s69, v0
	s_delay_alu instid0(VALU_DEP_3) | instskip(NEXT) | instid1(VALU_DEP_1)
	v_dual_cndmask_b32 v4, v5, v4 :: v_dual_ashrrev_i32 v5, 31, v7
	v_dual_cndmask_b32 v0, v0, v8, vcc_lo :: v_dual_bitop2_b32 v5, s74, v5 bitop3:0x14
	s_delay_alu instid0(VALU_DEP_2) | instskip(NEXT) | instid1(VALU_DEP_2)
	v_add_nc_u32_e32 v8, 1, v4
	v_cmp_le_u32_e32 vcc_lo, s69, v0
	s_delay_alu instid0(VALU_DEP_2) | instskip(NEXT) | instid1(VALU_DEP_1)
	v_cndmask_b32_e32 v0, v4, v8, vcc_lo
	v_xor_b32_e32 v0, v0, v5
	s_delay_alu instid0(VALU_DEP_1) | instskip(NEXT) | instid1(VALU_DEP_1)
	v_sub_nc_u32_e32 v10, v0, v5
	v_sub_nc_u32_e32 v0, 0, v10
	s_delay_alu instid0(VALU_DEP_1) | instskip(NEXT) | instid1(VALU_DEP_1)
	v_max_i32_e32 v0, v10, v0
	v_mul_u64_e32 v[4:5], s[62:63], v[0:1]
	s_delay_alu instid0(VALU_DEP_1) | instskip(NEXT) | instid1(VALU_DEP_1)
	v_mul_lo_u32 v4, v5, s71
	v_dual_sub_nc_u32 v0, v0, v4 :: v_dual_add_nc_u32 v4, 1, v5
	s_delay_alu instid0(VALU_DEP_1) | instskip(SKIP_1) | instid1(VALU_DEP_3)
	v_subrev_nc_u32_e32 v8, s71, v0
	v_cmp_le_u32_e32 vcc_lo, s71, v0
	v_dual_cndmask_b32 v4, v5, v4 :: v_dual_ashrrev_i32 v5, 31, v10
	s_delay_alu instid0(VALU_DEP_1) | instskip(NEXT) | instid1(VALU_DEP_2)
	v_dual_cndmask_b32 v0, v0, v8, vcc_lo :: v_dual_bitop2_b32 v5, s75, v5 bitop3:0x14
	v_add_nc_u32_e32 v8, 1, v4
	s_delay_alu instid0(VALU_DEP_2) | instskip(NEXT) | instid1(VALU_DEP_2)
	v_cmp_le_u32_e32 vcc_lo, s71, v0
	v_cndmask_b32_e32 v0, v4, v8, vcc_lo
	s_delay_alu instid0(VALU_DEP_1) | instskip(NEXT) | instid1(VALU_DEP_1)
	v_xor_b32_e32 v0, v0, v5
	v_sub_nc_u32_e32 v11, v0, v5
	s_delay_alu instid0(VALU_DEP_1) | instskip(NEXT) | instid1(VALU_DEP_1)
	v_sub_nc_u32_e32 v0, 0, v11
	v_max_i32_e32 v0, v11, v0
	s_delay_alu instid0(VALU_DEP_1) | instskip(NEXT) | instid1(VALU_DEP_1)
	v_mul_u64_e32 v[4:5], s[64:65], v[0:1]
	v_mul_lo_u32 v4, v5, s42
	s_delay_alu instid0(VALU_DEP_1) | instskip(NEXT) | instid1(VALU_DEP_1)
	v_dual_sub_nc_u32 v0, v0, v4 :: v_dual_add_nc_u32 v4, 1, v5
	v_subrev_nc_u32_e32 v8, s42, v0
	v_cmp_le_u32_e32 vcc_lo, s42, v0
	s_delay_alu instid0(VALU_DEP_3) | instskip(NEXT) | instid1(VALU_DEP_1)
	v_dual_cndmask_b32 v4, v5, v4 :: v_dual_ashrrev_i32 v5, 31, v11
	v_dual_cndmask_b32 v0, v0, v8, vcc_lo :: v_dual_bitop2_b32 v5, s16, v5 bitop3:0x14
	s_delay_alu instid0(VALU_DEP_2) | instskip(NEXT) | instid1(VALU_DEP_2)
	v_add_nc_u32_e32 v8, 1, v4
	v_cmp_le_u32_e32 vcc_lo, s42, v0
	s_delay_alu instid0(VALU_DEP_2) | instskip(NEXT) | instid1(VALU_DEP_1)
	v_cndmask_b32_e32 v0, v4, v8, vcc_lo
	v_xor_b32_e32 v0, v0, v5
	s_delay_alu instid0(VALU_DEP_1) | instskip(NEXT) | instid1(VALU_DEP_1)
	v_sub_nc_u32_e32 v9, v0, v5
	v_mul_lo_u32 v0, v9, s17
	s_delay_alu instid0(VALU_DEP_1) | instskip(SKIP_1) | instid1(VALU_DEP_2)
	v_sub_nc_u32_e32 v8, v11, v0
	v_mul_lo_u32 v11, v11, s18
	v_dual_sub_nc_u32 v0, 0, v8 :: v_dual_ashrrev_i32 v14, 31, v8
	v_mul_lo_u32 v22, s33, v8
	s_delay_alu instid0(VALU_DEP_2) | instskip(NEXT) | instid1(VALU_DEP_1)
	v_dual_sub_nc_u32 v11, v10, v11 :: v_dual_max_i32 v0, v8, v0
	v_mul_u64_e32 v[4:5], s[66:67], v[0:1]
	s_delay_alu instid0(VALU_DEP_3) | instskip(NEXT) | instid1(VALU_DEP_2)
	v_ashrrev_i32_e32 v23, 31, v22
	v_mul_lo_u32 v4, v5, s73
	s_delay_alu instid0(VALU_DEP_1) | instskip(SKIP_1) | instid1(VALU_DEP_2)
	v_dual_add_nc_u32 v12, 1, v5 :: v_dual_sub_nc_u32 v0, v0, v4
	v_mul_lo_u32 v4, v7, s34
	v_subrev_nc_u32_e32 v13, s73, v0
	v_cmp_le_u32_e32 vcc_lo, s73, v0
	s_delay_alu instid0(VALU_DEP_2) | instskip(SKIP_1) | instid1(VALU_DEP_2)
	v_dual_cndmask_b32 v5, v5, v12, vcc_lo :: v_dual_cndmask_b32 v13, v0, v13, vcc_lo
	v_mul_lo_u32 v12, v10, s19
	v_add_nc_u32_e32 v15, 1, v5
	s_delay_alu instid0(VALU_DEP_3) | instskip(SKIP_1) | instid1(VALU_DEP_3)
	v_cmp_le_u32_e32 vcc_lo, s73, v13
	v_dual_sub_nc_u32 v0, v6, v4 :: v_dual_bitop2_b32 v6, s76, v14 bitop3:0x14
	v_cndmask_b32_e32 v4, v5, v15, vcc_lo
	v_mul_lo_u32 v5, v11, s20
	v_sub_nc_u32_e32 v10, v7, v12
	s_delay_alu instid0(VALU_DEP_4) | instskip(NEXT) | instid1(VALU_DEP_4)
	v_mul_lo_u32 v7, v0, s22
	v_xor_b32_e32 v12, v4, v6
	v_mul_lo_u32 v4, s24, v9
	s_delay_alu instid0(VALU_DEP_4) | instskip(NEXT) | instid1(VALU_DEP_3)
	v_mul_lo_u32 v14, v10, s21
	v_sub_nc_u32_e32 v6, v12, v6
	v_subrev_nc_u32_e32 v13, s23, v5
	v_subrev_nc_u32_e32 v15, s51, v7
	v_ashrrev_i32_e32 v5, 31, v4
	s_delay_alu instid0(VALU_DEP_4)
	v_mul_lo_u32 v6, s25, v6
	v_subrev_nc_u32_e32 v14, s50, v14
	v_mul_lo_u32 v16, s26, v13
	v_mul_lo_u32 v18, s70, v15
	v_lshl_add_u64 v[4:5], v[4:5], 2, s[52:53]
	v_cmp_gt_i32_e64 s11, s13, v13
	v_mul_lo_u32 v20, s27, v14
	v_or_b32_e32 v12, v13, v14
	v_cmp_gt_i32_e64 s5, s14, v14
	v_cmp_gt_i32_e64 s0, s15, v15
	v_cmp_lt_i32_e64 s8, -1, v14
	v_ashrrev_i32_e32 v7, 31, v6
	v_cmp_lt_i32_e64 s7, -1, v13
	v_ashrrev_i32_e32 v17, 31, v16
	v_cmp_lt_i32_e32 vcc_lo, -1, v15
	s_delay_alu instid0(VALU_DEP_4) | instskip(SKIP_3) | instid1(VALU_DEP_4)
	v_lshl_add_u64 v[4:5], v[6:7], 2, v[4:5]
	v_dual_ashrrev_i32 v21, 31, v20 :: v_dual_ashrrev_i32 v19, 31, v18
	v_or_b32_e32 v6, v12, v15
	v_cmp_lt_i32_e64 s4, -1, v12
	v_lshl_add_u64 v[4:5], v[16:17], 2, v[4:5]
	v_mov_b32_e32 v12, 0
	s_delay_alu instid0(VALU_DEP_4) | instskip(NEXT) | instid1(VALU_DEP_3)
	v_cmp_lt_i32_e64 s1, -1, v6
	v_lshl_add_u64 v[6:7], v[20:21], 2, v[4:5]
	v_lshl_add_u64 v[4:5], v[22:23], 2, s[56:57]
	s_and_b32 s1, s1, s11
	s_delay_alu instid0(VALU_DEP_2) | instskip(SKIP_1) | instid1(SALU_CYCLE_1)
	v_lshl_add_u64 v[6:7], v[18:19], 2, v[6:7]
	s_and_b32 s1, s1, s5
	s_and_b32 s2, s1, s0
	s_delay_alu instid0(SALU_CYCLE_1)
	s_and_saveexec_b32 s1, s2
	s_cbranch_execz .LBB3_5
; %bb.4:                                ;   in Loop: Header=BB3_3 Depth=1
	global_load_b32 v12, v[4:5], off
	global_load_b32 v16, v[6:7], off
	s_wait_loadcnt 0x0
	v_fma_f32 v12, v12, v16, 0
.LBB3_5:                                ;   in Loop: Header=BB3_3 Depth=1
	s_wait_xcnt 0x0
	s_or_b32 exec_lo, exec_lo, s1
	v_cmp_lt_i32_e64 s1, -2, v15
	v_add_nc_u32_e32 v16, 1, v15
	s_and_b32 s3, s4, s1
	s_delay_alu instid0(VALU_DEP_1) | instskip(SKIP_1) | instid1(SALU_CYCLE_1)
	v_cmp_gt_i32_e64 s2, s15, v16
	s_and_b32 s3, s3, s11
	s_and_b32 s3, s3, s5
	s_delay_alu instid0(SALU_CYCLE_1) | instskip(NEXT) | instid1(SALU_CYCLE_1)
	s_and_b32 s6, s3, s2
	s_and_saveexec_b32 s3, s6
	s_cbranch_execz .LBB3_7
; %bb.6:                                ;   in Loop: Header=BB3_3 Depth=1
	global_load_b32 v16, v[4:5], off offset:4
	global_load_b32 v17, v[6:7], off offset:4
	s_wait_loadcnt 0x0
	v_fmac_f32_e32 v12, v16, v17
.LBB3_7:                                ;   in Loop: Header=BB3_3 Depth=1
	s_wait_xcnt 0x0
	s_or_b32 exec_lo, exec_lo, s3
	v_cmp_lt_i32_e64 s3, -3, v15
	v_add_nc_u32_e32 v15, 2, v15
	s_and_b32 s6, s4, s3
	s_delay_alu instid0(VALU_DEP_1) | instskip(SKIP_1) | instid1(SALU_CYCLE_1)
	v_cmp_gt_i32_e64 s4, s15, v15
	s_and_b32 s6, s6, s11
	s_and_b32 s6, s6, s5
	s_delay_alu instid0(SALU_CYCLE_1) | instskip(NEXT) | instid1(SALU_CYCLE_1)
	s_and_b32 s9, s6, s4
	s_and_saveexec_b32 s6, s9
	s_cbranch_execz .LBB3_9
; %bb.8:                                ;   in Loop: Header=BB3_3 Depth=1
	global_load_b32 v15, v[4:5], off offset:8
	global_load_b32 v16, v[6:7], off offset:8
	s_wait_loadcnt 0x0
	v_fmac_f32_e32 v12, v15, v16
.LBB3_9:                                ;   in Loop: Header=BB3_3 Depth=1
	s_wait_xcnt 0x0
	s_or_b32 exec_lo, exec_lo, s6
	v_cmp_lt_i32_e64 s9, -2, v14
	v_add_nc_u32_e32 v15, 1, v14
	v_lshl_add_u64 v[6:7], s[46:47], 2, v[6:7]
	s_and_b32 s10, s7, s9
	s_delay_alu instid0(VALU_DEP_2) | instskip(SKIP_1) | instid1(SALU_CYCLE_1)
	v_cmp_gt_i32_e64 s6, s14, v15
	s_and_b32 s12, s10, vcc_lo
	s_and_b32 s12, s12, s11
	s_delay_alu instid0(SALU_CYCLE_1) | instskip(NEXT) | instid1(SALU_CYCLE_1)
	s_and_b32 s12, s12, s6
	s_and_b32 s79, s12, s0
	s_delay_alu instid0(SALU_CYCLE_1)
	s_and_saveexec_b32 s12, s79
	s_cbranch_execz .LBB3_11
; %bb.10:                               ;   in Loop: Header=BB3_3 Depth=1
	global_load_b32 v15, v[4:5], off offset:12
	global_load_b32 v16, v[6:7], off
	s_wait_loadcnt 0x0
	v_fmac_f32_e32 v12, v15, v16
.LBB3_11:                               ;   in Loop: Header=BB3_3 Depth=1
	s_wait_xcnt 0x0
	s_or_b32 exec_lo, exec_lo, s12
	s_and_b32 s12, s10, s1
	s_delay_alu instid0(SALU_CYCLE_1) | instskip(NEXT) | instid1(SALU_CYCLE_1)
	s_and_b32 s12, s12, s11
	s_and_b32 s12, s12, s6
	s_delay_alu instid0(SALU_CYCLE_1) | instskip(NEXT) | instid1(SALU_CYCLE_1)
	s_and_b32 s79, s12, s2
	s_and_saveexec_b32 s12, s79
	s_cbranch_execz .LBB3_13
; %bb.12:                               ;   in Loop: Header=BB3_3 Depth=1
	global_load_b32 v15, v[4:5], off offset:16
	global_load_b32 v16, v[6:7], off offset:4
	s_wait_loadcnt 0x0
	v_fmac_f32_e32 v12, v15, v16
.LBB3_13:                               ;   in Loop: Header=BB3_3 Depth=1
	s_wait_xcnt 0x0
	s_or_b32 exec_lo, exec_lo, s12
	s_and_b32 s10, s10, s3
	s_delay_alu instid0(SALU_CYCLE_1) | instskip(NEXT) | instid1(SALU_CYCLE_1)
	s_and_b32 s10, s10, s11
	s_and_b32 s10, s10, s6
	s_delay_alu instid0(SALU_CYCLE_1) | instskip(NEXT) | instid1(SALU_CYCLE_1)
	s_and_b32 s12, s10, s4
	s_and_saveexec_b32 s10, s12
	s_cbranch_execz .LBB3_15
; %bb.14:                               ;   in Loop: Header=BB3_3 Depth=1
	global_load_b32 v15, v[4:5], off offset:20
	global_load_b32 v16, v[6:7], off offset:8
	s_wait_loadcnt 0x0
	v_fmac_f32_e32 v12, v15, v16
.LBB3_15:                               ;   in Loop: Header=BB3_3 Depth=1
	s_wait_xcnt 0x0
	s_or_b32 exec_lo, exec_lo, s10
	v_cmp_lt_i32_e64 s10, -3, v14
	v_add_nc_u32_e32 v14, 2, v14
	v_lshl_add_u64 v[6:7], s[46:47], 2, v[6:7]
	s_and_b32 s12, s7, s10
	s_delay_alu instid0(VALU_DEP_2) | instskip(SKIP_1) | instid1(SALU_CYCLE_1)
	v_cmp_gt_i32_e64 s7, s14, v14
	s_and_b32 s79, s12, vcc_lo
	s_and_b32 s79, s79, s11
	s_delay_alu instid0(SALU_CYCLE_1) | instskip(NEXT) | instid1(SALU_CYCLE_1)
	s_and_b32 s79, s79, s7
	s_and_b32 s80, s79, s0
	s_delay_alu instid0(SALU_CYCLE_1)
	s_and_saveexec_b32 s79, s80
	s_cbranch_execz .LBB3_17
; %bb.16:                               ;   in Loop: Header=BB3_3 Depth=1
	global_load_b32 v14, v[4:5], off offset:24
	global_load_b32 v15, v[6:7], off
	s_wait_loadcnt 0x0
	v_fmac_f32_e32 v12, v14, v15
.LBB3_17:                               ;   in Loop: Header=BB3_3 Depth=1
	s_wait_xcnt 0x0
	s_or_b32 exec_lo, exec_lo, s79
	s_and_b32 s79, s12, s1
	s_delay_alu instid0(SALU_CYCLE_1) | instskip(NEXT) | instid1(SALU_CYCLE_1)
	s_and_b32 s79, s79, s11
	s_and_b32 s79, s79, s7
	s_delay_alu instid0(SALU_CYCLE_1) | instskip(NEXT) | instid1(SALU_CYCLE_1)
	s_and_b32 s80, s79, s2
	s_and_saveexec_b32 s79, s80
	s_cbranch_execz .LBB3_19
; %bb.18:                               ;   in Loop: Header=BB3_3 Depth=1
	global_load_b32 v14, v[4:5], off offset:28
	global_load_b32 v15, v[6:7], off offset:4
	s_wait_loadcnt 0x0
	v_fmac_f32_e32 v12, v14, v15
.LBB3_19:                               ;   in Loop: Header=BB3_3 Depth=1
	s_wait_xcnt 0x0
	s_or_b32 exec_lo, exec_lo, s79
	s_and_b32 s12, s12, s3
	s_delay_alu instid0(SALU_CYCLE_1) | instskip(NEXT) | instid1(SALU_CYCLE_1)
	s_and_b32 s11, s12, s11
	s_and_b32 s11, s11, s7
	s_delay_alu instid0(SALU_CYCLE_1) | instskip(NEXT) | instid1(SALU_CYCLE_1)
	s_and_b32 s12, s11, s4
	s_and_saveexec_b32 s11, s12
	s_cbranch_execz .LBB3_21
; %bb.20:                               ;   in Loop: Header=BB3_3 Depth=1
	global_load_b32 v14, v[4:5], off offset:32
	global_load_b32 v15, v[6:7], off offset:8
	s_wait_loadcnt 0x0
	v_fmac_f32_e32 v12, v14, v15
.LBB3_21:                               ;   in Loop: Header=BB3_3 Depth=1
	s_wait_xcnt 0x0
	s_or_b32 exec_lo, exec_lo, s11
	v_add_nc_u32_e32 v14, 1, v13
	v_cmp_lt_i32_e64 s12, -2, v13
	v_lshl_add_u64 v[6:7], s[46:47], 2, v[6:7]
	s_delay_alu instid0(VALU_DEP_3) | instskip(SKIP_3) | instid1(SALU_CYCLE_1)
	v_cmp_gt_i32_e64 s11, s13, v14
	s_and_b32 s79, s12, s8
	v_lshl_add_u64 v[6:7], s[48:49], 2, v[6:7]
	s_and_b32 s80, s79, vcc_lo
	s_and_b32 s80, s80, s11
	s_delay_alu instid0(SALU_CYCLE_1) | instskip(NEXT) | instid1(SALU_CYCLE_1)
	s_and_b32 s80, s80, s5
	s_and_b32 s81, s80, s0
	s_delay_alu instid0(SALU_CYCLE_1)
	s_and_saveexec_b32 s80, s81
	s_cbranch_execz .LBB3_23
; %bb.22:                               ;   in Loop: Header=BB3_3 Depth=1
	global_load_b32 v14, v[4:5], off offset:36
	global_load_b32 v15, v[6:7], off
	s_wait_loadcnt 0x0
	v_fmac_f32_e32 v12, v14, v15
.LBB3_23:                               ;   in Loop: Header=BB3_3 Depth=1
	s_wait_xcnt 0x0
	s_or_b32 exec_lo, exec_lo, s80
	s_and_b32 s80, s79, s1
	s_delay_alu instid0(SALU_CYCLE_1) | instskip(NEXT) | instid1(SALU_CYCLE_1)
	s_and_b32 s80, s80, s11
	s_and_b32 s80, s80, s5
	s_delay_alu instid0(SALU_CYCLE_1) | instskip(NEXT) | instid1(SALU_CYCLE_1)
	s_and_b32 s81, s80, s2
	s_and_saveexec_b32 s80, s81
	s_cbranch_execz .LBB3_25
; %bb.24:                               ;   in Loop: Header=BB3_3 Depth=1
	global_load_b32 v14, v[4:5], off offset:40
	global_load_b32 v15, v[6:7], off offset:4
	s_wait_loadcnt 0x0
	v_fmac_f32_e32 v12, v14, v15
.LBB3_25:                               ;   in Loop: Header=BB3_3 Depth=1
	s_wait_xcnt 0x0
	s_or_b32 exec_lo, exec_lo, s80
	s_and_b32 s79, s79, s3
	s_delay_alu instid0(SALU_CYCLE_1) | instskip(NEXT) | instid1(SALU_CYCLE_1)
	s_and_b32 s79, s79, s11
	s_and_b32 s79, s79, s5
	s_delay_alu instid0(SALU_CYCLE_1) | instskip(NEXT) | instid1(SALU_CYCLE_1)
	s_and_b32 s80, s79, s4
	s_and_saveexec_b32 s79, s80
	s_cbranch_execz .LBB3_27
; %bb.26:                               ;   in Loop: Header=BB3_3 Depth=1
	global_load_b32 v14, v[4:5], off offset:44
	global_load_b32 v15, v[6:7], off offset:8
	s_wait_loadcnt 0x0
	v_fmac_f32_e32 v12, v14, v15
.LBB3_27:                               ;   in Loop: Header=BB3_3 Depth=1
	s_wait_xcnt 0x0
	s_or_b32 exec_lo, exec_lo, s79
	s_and_b32 s79, s12, s9
	v_lshl_add_u64 v[6:7], s[46:47], 2, v[6:7]
	s_and_b32 s80, s79, vcc_lo
	s_delay_alu instid0(SALU_CYCLE_1) | instskip(NEXT) | instid1(SALU_CYCLE_1)
	s_and_b32 s80, s80, s11
	s_and_b32 s80, s80, s6
	s_delay_alu instid0(SALU_CYCLE_1) | instskip(NEXT) | instid1(SALU_CYCLE_1)
	s_and_b32 s81, s80, s0
	s_and_saveexec_b32 s80, s81
	s_cbranch_execz .LBB3_29
; %bb.28:                               ;   in Loop: Header=BB3_3 Depth=1
	global_load_b32 v14, v[4:5], off offset:48
	global_load_b32 v15, v[6:7], off
	s_wait_loadcnt 0x0
	v_fmac_f32_e32 v12, v14, v15
.LBB3_29:                               ;   in Loop: Header=BB3_3 Depth=1
	s_wait_xcnt 0x0
	s_or_b32 exec_lo, exec_lo, s80
	s_and_b32 s80, s79, s1
	s_delay_alu instid0(SALU_CYCLE_1) | instskip(NEXT) | instid1(SALU_CYCLE_1)
	s_and_b32 s80, s80, s11
	s_and_b32 s80, s80, s6
	s_delay_alu instid0(SALU_CYCLE_1) | instskip(NEXT) | instid1(SALU_CYCLE_1)
	s_and_b32 s81, s80, s2
	s_and_saveexec_b32 s80, s81
	s_cbranch_execz .LBB3_31
; %bb.30:                               ;   in Loop: Header=BB3_3 Depth=1
	global_load_b32 v14, v[4:5], off offset:52
	global_load_b32 v15, v[6:7], off offset:4
	s_wait_loadcnt 0x0
	v_fmac_f32_e32 v12, v14, v15
.LBB3_31:                               ;   in Loop: Header=BB3_3 Depth=1
	s_wait_xcnt 0x0
	s_or_b32 exec_lo, exec_lo, s80
	s_and_b32 s79, s79, s3
	s_delay_alu instid0(SALU_CYCLE_1) | instskip(NEXT) | instid1(SALU_CYCLE_1)
	s_and_b32 s79, s79, s11
	s_and_b32 s79, s79, s6
	s_delay_alu instid0(SALU_CYCLE_1) | instskip(NEXT) | instid1(SALU_CYCLE_1)
	s_and_b32 s80, s79, s4
	s_and_saveexec_b32 s79, s80
	s_cbranch_execz .LBB3_33
; %bb.32:                               ;   in Loop: Header=BB3_3 Depth=1
	global_load_b32 v14, v[4:5], off offset:56
	global_load_b32 v15, v[6:7], off offset:8
	s_wait_loadcnt 0x0
	v_fmac_f32_e32 v12, v14, v15
.LBB3_33:                               ;   in Loop: Header=BB3_3 Depth=1
	s_wait_xcnt 0x0
	s_or_b32 exec_lo, exec_lo, s79
	s_and_b32 s12, s12, s10
	v_lshl_add_u64 v[6:7], s[46:47], 2, v[6:7]
	s_and_b32 s79, s12, vcc_lo
	s_delay_alu instid0(SALU_CYCLE_1) | instskip(NEXT) | instid1(SALU_CYCLE_1)
	s_and_b32 s79, s79, s11
	s_and_b32 s79, s79, s7
	s_delay_alu instid0(SALU_CYCLE_1) | instskip(NEXT) | instid1(SALU_CYCLE_1)
	s_and_b32 s80, s79, s0
	s_and_saveexec_b32 s79, s80
	s_cbranch_execz .LBB3_35
; %bb.34:                               ;   in Loop: Header=BB3_3 Depth=1
	global_load_b32 v14, v[4:5], off offset:60
	global_load_b32 v15, v[6:7], off
	s_wait_loadcnt 0x0
	v_fmac_f32_e32 v12, v14, v15
.LBB3_35:                               ;   in Loop: Header=BB3_3 Depth=1
	s_wait_xcnt 0x0
	s_or_b32 exec_lo, exec_lo, s79
	s_and_b32 s79, s12, s1
	s_delay_alu instid0(SALU_CYCLE_1) | instskip(NEXT) | instid1(SALU_CYCLE_1)
	s_and_b32 s79, s79, s11
	s_and_b32 s79, s79, s7
	s_delay_alu instid0(SALU_CYCLE_1) | instskip(NEXT) | instid1(SALU_CYCLE_1)
	s_and_b32 s80, s79, s2
	s_and_saveexec_b32 s79, s80
	s_cbranch_execz .LBB3_37
; %bb.36:                               ;   in Loop: Header=BB3_3 Depth=1
	global_load_b32 v14, v[4:5], off offset:64
	global_load_b32 v15, v[6:7], off offset:4
	s_wait_loadcnt 0x0
	v_fmac_f32_e32 v12, v14, v15
.LBB3_37:                               ;   in Loop: Header=BB3_3 Depth=1
	s_wait_xcnt 0x0
	s_or_b32 exec_lo, exec_lo, s79
	s_and_b32 s12, s12, s3
	s_delay_alu instid0(SALU_CYCLE_1) | instskip(NEXT) | instid1(SALU_CYCLE_1)
	s_and_b32 s11, s12, s11
	s_and_b32 s11, s11, s7
	s_delay_alu instid0(SALU_CYCLE_1) | instskip(NEXT) | instid1(SALU_CYCLE_1)
	s_and_b32 s12, s11, s4
	s_and_saveexec_b32 s11, s12
	s_cbranch_execz .LBB3_39
; %bb.38:                               ;   in Loop: Header=BB3_3 Depth=1
	global_load_b32 v14, v[4:5], off offset:68
	global_load_b32 v15, v[6:7], off offset:8
	s_wait_loadcnt 0x0
	v_fmac_f32_e32 v12, v14, v15
.LBB3_39:                               ;   in Loop: Header=BB3_3 Depth=1
	s_wait_xcnt 0x0
	s_or_b32 exec_lo, exec_lo, s11
	v_add_nc_u32_e32 v14, 2, v13
	v_cmp_lt_i32_e64 s12, -3, v13
	v_lshl_add_u64 v[6:7], s[46:47], 2, v[6:7]
	s_delay_alu instid0(VALU_DEP_3) | instskip(SKIP_3) | instid1(SALU_CYCLE_1)
	v_cmp_gt_i32_e64 s11, s13, v14
	s_and_b32 s8, s12, s8
	v_lshl_add_u64 v[6:7], s[48:49], 2, v[6:7]
	s_and_b32 s79, s8, vcc_lo
	s_and_b32 s79, s79, s11
	s_delay_alu instid0(SALU_CYCLE_1) | instskip(NEXT) | instid1(SALU_CYCLE_1)
	s_and_b32 s79, s79, s5
	s_and_b32 s80, s79, s0
	s_delay_alu instid0(SALU_CYCLE_1)
	s_and_saveexec_b32 s79, s80
	s_cbranch_execz .LBB3_41
; %bb.40:                               ;   in Loop: Header=BB3_3 Depth=1
	global_load_b32 v13, v[4:5], off offset:72
	global_load_b32 v14, v[6:7], off
	s_wait_loadcnt 0x0
	v_fmac_f32_e32 v12, v13, v14
.LBB3_41:                               ;   in Loop: Header=BB3_3 Depth=1
	s_wait_xcnt 0x0
	s_or_b32 exec_lo, exec_lo, s79
	s_and_b32 s79, s8, s1
	s_delay_alu instid0(SALU_CYCLE_1) | instskip(NEXT) | instid1(SALU_CYCLE_1)
	s_and_b32 s79, s79, s11
	s_and_b32 s79, s79, s5
	s_delay_alu instid0(SALU_CYCLE_1) | instskip(NEXT) | instid1(SALU_CYCLE_1)
	s_and_b32 s80, s79, s2
	s_and_saveexec_b32 s79, s80
	s_cbranch_execz .LBB3_43
; %bb.42:                               ;   in Loop: Header=BB3_3 Depth=1
	global_load_b32 v13, v[4:5], off offset:76
	global_load_b32 v14, v[6:7], off offset:4
	s_wait_loadcnt 0x0
	v_fmac_f32_e32 v12, v13, v14
.LBB3_43:                               ;   in Loop: Header=BB3_3 Depth=1
	s_wait_xcnt 0x0
	s_or_b32 exec_lo, exec_lo, s79
	s_and_b32 s8, s8, s3
	s_delay_alu instid0(SALU_CYCLE_1) | instskip(NEXT) | instid1(SALU_CYCLE_1)
	s_and_b32 s8, s8, s11
	s_and_b32 s5, s8, s5
	s_delay_alu instid0(SALU_CYCLE_1) | instskip(NEXT) | instid1(SALU_CYCLE_1)
	s_and_b32 s8, s5, s4
	s_and_saveexec_b32 s5, s8
	s_cbranch_execz .LBB3_45
; %bb.44:                               ;   in Loop: Header=BB3_3 Depth=1
	global_load_b32 v13, v[4:5], off offset:80
	global_load_b32 v14, v[6:7], off offset:8
	s_wait_loadcnt 0x0
	v_fmac_f32_e32 v12, v13, v14
.LBB3_45:                               ;   in Loop: Header=BB3_3 Depth=1
	s_wait_xcnt 0x0
	s_or_b32 exec_lo, exec_lo, s5
	s_and_b32 s5, s12, s9
	v_lshl_add_u64 v[6:7], s[46:47], 2, v[6:7]
	s_and_b32 s8, s5, vcc_lo
	s_delay_alu instid0(SALU_CYCLE_1) | instskip(NEXT) | instid1(SALU_CYCLE_1)
	s_and_b32 s8, s8, s11
	s_and_b32 s8, s8, s6
	s_delay_alu instid0(SALU_CYCLE_1) | instskip(NEXT) | instid1(SALU_CYCLE_1)
	s_and_b32 s9, s8, s0
	s_and_saveexec_b32 s8, s9
	s_cbranch_execz .LBB3_47
; %bb.46:                               ;   in Loop: Header=BB3_3 Depth=1
	global_load_b32 v13, v[4:5], off offset:84
	global_load_b32 v14, v[6:7], off
	s_wait_loadcnt 0x0
	v_fmac_f32_e32 v12, v13, v14
.LBB3_47:                               ;   in Loop: Header=BB3_3 Depth=1
	s_wait_xcnt 0x0
	s_or_b32 exec_lo, exec_lo, s8
	s_and_b32 s8, s5, s1
	s_delay_alu instid0(SALU_CYCLE_1) | instskip(NEXT) | instid1(SALU_CYCLE_1)
	s_and_b32 s8, s8, s11
	s_and_b32 s8, s8, s6
	s_delay_alu instid0(SALU_CYCLE_1) | instskip(NEXT) | instid1(SALU_CYCLE_1)
	s_and_b32 s9, s8, s2
	s_and_saveexec_b32 s8, s9
	s_cbranch_execz .LBB3_49
; %bb.48:                               ;   in Loop: Header=BB3_3 Depth=1
	global_load_b32 v13, v[4:5], off offset:88
	global_load_b32 v14, v[6:7], off offset:4
	s_wait_loadcnt 0x0
	v_fmac_f32_e32 v12, v13, v14
.LBB3_49:                               ;   in Loop: Header=BB3_3 Depth=1
	s_wait_xcnt 0x0
	s_or_b32 exec_lo, exec_lo, s8
	s_and_b32 s5, s5, s3
	s_delay_alu instid0(SALU_CYCLE_1) | instskip(NEXT) | instid1(SALU_CYCLE_1)
	s_and_b32 s5, s5, s11
	s_and_b32 s5, s5, s6
	s_delay_alu instid0(SALU_CYCLE_1) | instskip(NEXT) | instid1(SALU_CYCLE_1)
	s_and_b32 s6, s5, s4
	s_and_saveexec_b32 s5, s6
	s_cbranch_execz .LBB3_51
; %bb.50:                               ;   in Loop: Header=BB3_3 Depth=1
	global_load_b32 v13, v[4:5], off offset:92
	global_load_b32 v14, v[6:7], off offset:8
	s_wait_loadcnt 0x0
	v_fmac_f32_e32 v12, v13, v14
.LBB3_51:                               ;   in Loop: Header=BB3_3 Depth=1
	s_wait_xcnt 0x0
	s_or_b32 exec_lo, exec_lo, s5
	s_and_b32 s5, s12, s10
	v_lshl_add_u64 v[6:7], s[46:47], 2, v[6:7]
	s_and_b32 s6, s5, vcc_lo
	s_delay_alu instid0(SALU_CYCLE_1) | instskip(NEXT) | instid1(SALU_CYCLE_1)
	s_and_b32 s6, s6, s11
	s_and_b32 s6, s6, s7
	s_delay_alu instid0(SALU_CYCLE_1) | instskip(NEXT) | instid1(SALU_CYCLE_1)
	s_and_b32 s6, s6, s0
	s_and_saveexec_b32 s0, s6
	s_cbranch_execz .LBB3_53
; %bb.52:                               ;   in Loop: Header=BB3_3 Depth=1
	global_load_b32 v13, v[4:5], off offset:96
	global_load_b32 v14, v[6:7], off
	s_wait_loadcnt 0x0
	v_fmac_f32_e32 v12, v13, v14
.LBB3_53:                               ;   in Loop: Header=BB3_3 Depth=1
	s_wait_xcnt 0x0
	s_or_b32 exec_lo, exec_lo, s0
	s_and_b32 s0, s5, s1
	s_delay_alu instid0(SALU_CYCLE_1) | instskip(NEXT) | instid1(SALU_CYCLE_1)
	s_and_b32 s0, s0, s11
	s_and_b32 s0, s0, s7
	s_delay_alu instid0(SALU_CYCLE_1) | instskip(NEXT) | instid1(SALU_CYCLE_1)
	s_and_b32 s1, s0, s2
	s_and_saveexec_b32 s0, s1
	s_cbranch_execz .LBB3_55
; %bb.54:                               ;   in Loop: Header=BB3_3 Depth=1
	global_load_b32 v13, v[4:5], off offset:100
	global_load_b32 v14, v[6:7], off offset:4
	s_wait_loadcnt 0x0
	v_fmac_f32_e32 v12, v13, v14
.LBB3_55:                               ;   in Loop: Header=BB3_3 Depth=1
	s_wait_xcnt 0x0
	s_or_b32 exec_lo, exec_lo, s0
	s_and_b32 s0, s5, s3
	s_delay_alu instid0(SALU_CYCLE_1) | instskip(NEXT) | instid1(SALU_CYCLE_1)
	s_and_b32 s0, s0, s11
	s_and_b32 s0, s0, s7
	s_delay_alu instid0(SALU_CYCLE_1) | instskip(NEXT) | instid1(SALU_CYCLE_1)
	s_and_b32 s1, s0, s4
	s_and_saveexec_b32 s0, s1
	s_cbranch_execz .LBB3_57
; %bb.56:                               ;   in Loop: Header=BB3_3 Depth=1
	global_load_b32 v4, v[4:5], off offset:104
	global_load_b32 v5, v[6:7], off offset:8
	s_wait_loadcnt 0x0
	v_fmac_f32_e32 v12, v4, v5
.LBB3_57:                               ;   in Loop: Header=BB3_3 Depth=1
	s_wait_xcnt 0x0
	s_or_b32 exec_lo, exec_lo, s0
	s_delay_alu instid0(SALU_CYCLE_1)
	s_and_not1_b32 vcc_lo, exec_lo, s43
	s_cbranch_vccnz .LBB3_2
; %bb.58:                               ;   in Loop: Header=BB3_3 Depth=1
	global_load_b32 v4, v8, s[44:45] scale_offset
	s_wait_loadcnt 0x0
	v_add_f32_e32 v12, v12, v4
	s_branch .LBB3_2
.LBB3_59:
	s_endpgm
	.section	.rodata,"a",@progbits
	.p2align	6, 0x0
	.amdhsa_kernel _ZN2at6native12_GLOBAL__N_128conv_depthwise3d_cuda_kernelIffLi3ELi3ELi3ELi1ELi1ELi1EEEvN5torch10headeronly6detail27GenericPackedTensorAccessorINS5_14TensorAccessorIN3c108ArrayRefIlEEKT_Lm4ENS4_16DefaultPtrTraitsEiEENS_6detail16IndexBoundsCheckILm5EiEESC_Lm5ESD_iEENS6_INS7_ISA_SB_Lm4ESD_iEESH_SB_Lm5ESD_iEESI_PSC_iiiiiiiii
		.amdhsa_group_segment_fixed_size 0
		.amdhsa_private_segment_fixed_size 0
		.amdhsa_kernarg_size 448
		.amdhsa_user_sgpr_count 2
		.amdhsa_user_sgpr_dispatch_ptr 0
		.amdhsa_user_sgpr_queue_ptr 0
		.amdhsa_user_sgpr_kernarg_segment_ptr 1
		.amdhsa_user_sgpr_dispatch_id 0
		.amdhsa_user_sgpr_kernarg_preload_length 0
		.amdhsa_user_sgpr_kernarg_preload_offset 0
		.amdhsa_user_sgpr_private_segment_size 0
		.amdhsa_wavefront_size32 1
		.amdhsa_uses_dynamic_stack 0
		.amdhsa_enable_private_segment 0
		.amdhsa_system_sgpr_workgroup_id_x 1
		.amdhsa_system_sgpr_workgroup_id_y 0
		.amdhsa_system_sgpr_workgroup_id_z 0
		.amdhsa_system_sgpr_workgroup_info 0
		.amdhsa_system_vgpr_workitem_id 0
		.amdhsa_next_free_vgpr 24
		.amdhsa_next_free_sgpr 82
		.amdhsa_named_barrier_count 0
		.amdhsa_reserve_vcc 1
		.amdhsa_float_round_mode_32 0
		.amdhsa_float_round_mode_16_64 0
		.amdhsa_float_denorm_mode_32 3
		.amdhsa_float_denorm_mode_16_64 3
		.amdhsa_fp16_overflow 0
		.amdhsa_memory_ordered 1
		.amdhsa_forward_progress 1
		.amdhsa_inst_pref_size 31
		.amdhsa_round_robin_scheduling 0
		.amdhsa_exception_fp_ieee_invalid_op 0
		.amdhsa_exception_fp_denorm_src 0
		.amdhsa_exception_fp_ieee_div_zero 0
		.amdhsa_exception_fp_ieee_overflow 0
		.amdhsa_exception_fp_ieee_underflow 0
		.amdhsa_exception_fp_ieee_inexact 0
		.amdhsa_exception_int_div_zero 0
	.end_amdhsa_kernel
	.section	.text._ZN2at6native12_GLOBAL__N_128conv_depthwise3d_cuda_kernelIffLi3ELi3ELi3ELi1ELi1ELi1EEEvN5torch10headeronly6detail27GenericPackedTensorAccessorINS5_14TensorAccessorIN3c108ArrayRefIlEEKT_Lm4ENS4_16DefaultPtrTraitsEiEENS_6detail16IndexBoundsCheckILm5EiEESC_Lm5ESD_iEENS6_INS7_ISA_SB_Lm4ESD_iEESH_SB_Lm5ESD_iEESI_PSC_iiiiiiiii,"axG",@progbits,_ZN2at6native12_GLOBAL__N_128conv_depthwise3d_cuda_kernelIffLi3ELi3ELi3ELi1ELi1ELi1EEEvN5torch10headeronly6detail27GenericPackedTensorAccessorINS5_14TensorAccessorIN3c108ArrayRefIlEEKT_Lm4ENS4_16DefaultPtrTraitsEiEENS_6detail16IndexBoundsCheckILm5EiEESC_Lm5ESD_iEENS6_INS7_ISA_SB_Lm4ESD_iEESH_SB_Lm5ESD_iEESI_PSC_iiiiiiiii,comdat
.Lfunc_end3:
	.size	_ZN2at6native12_GLOBAL__N_128conv_depthwise3d_cuda_kernelIffLi3ELi3ELi3ELi1ELi1ELi1EEEvN5torch10headeronly6detail27GenericPackedTensorAccessorINS5_14TensorAccessorIN3c108ArrayRefIlEEKT_Lm4ENS4_16DefaultPtrTraitsEiEENS_6detail16IndexBoundsCheckILm5EiEESC_Lm5ESD_iEENS6_INS7_ISA_SB_Lm4ESD_iEESH_SB_Lm5ESD_iEESI_PSC_iiiiiiiii, .Lfunc_end3-_ZN2at6native12_GLOBAL__N_128conv_depthwise3d_cuda_kernelIffLi3ELi3ELi3ELi1ELi1ELi1EEEvN5torch10headeronly6detail27GenericPackedTensorAccessorINS5_14TensorAccessorIN3c108ArrayRefIlEEKT_Lm4ENS4_16DefaultPtrTraitsEiEENS_6detail16IndexBoundsCheckILm5EiEESC_Lm5ESD_iEENS6_INS7_ISA_SB_Lm4ESD_iEESH_SB_Lm5ESD_iEESI_PSC_iiiiiiiii
                                        ; -- End function
	.set _ZN2at6native12_GLOBAL__N_128conv_depthwise3d_cuda_kernelIffLi3ELi3ELi3ELi1ELi1ELi1EEEvN5torch10headeronly6detail27GenericPackedTensorAccessorINS5_14TensorAccessorIN3c108ArrayRefIlEEKT_Lm4ENS4_16DefaultPtrTraitsEiEENS_6detail16IndexBoundsCheckILm5EiEESC_Lm5ESD_iEENS6_INS7_ISA_SB_Lm4ESD_iEESH_SB_Lm5ESD_iEESI_PSC_iiiiiiiii.num_vgpr, 24
	.set _ZN2at6native12_GLOBAL__N_128conv_depthwise3d_cuda_kernelIffLi3ELi3ELi3ELi1ELi1ELi1EEEvN5torch10headeronly6detail27GenericPackedTensorAccessorINS5_14TensorAccessorIN3c108ArrayRefIlEEKT_Lm4ENS4_16DefaultPtrTraitsEiEENS_6detail16IndexBoundsCheckILm5EiEESC_Lm5ESD_iEENS6_INS7_ISA_SB_Lm4ESD_iEESH_SB_Lm5ESD_iEESI_PSC_iiiiiiiii.num_agpr, 0
	.set _ZN2at6native12_GLOBAL__N_128conv_depthwise3d_cuda_kernelIffLi3ELi3ELi3ELi1ELi1ELi1EEEvN5torch10headeronly6detail27GenericPackedTensorAccessorINS5_14TensorAccessorIN3c108ArrayRefIlEEKT_Lm4ENS4_16DefaultPtrTraitsEiEENS_6detail16IndexBoundsCheckILm5EiEESC_Lm5ESD_iEENS6_INS7_ISA_SB_Lm4ESD_iEESH_SB_Lm5ESD_iEESI_PSC_iiiiiiiii.numbered_sgpr, 82
	.set _ZN2at6native12_GLOBAL__N_128conv_depthwise3d_cuda_kernelIffLi3ELi3ELi3ELi1ELi1ELi1EEEvN5torch10headeronly6detail27GenericPackedTensorAccessorINS5_14TensorAccessorIN3c108ArrayRefIlEEKT_Lm4ENS4_16DefaultPtrTraitsEiEENS_6detail16IndexBoundsCheckILm5EiEESC_Lm5ESD_iEENS6_INS7_ISA_SB_Lm4ESD_iEESH_SB_Lm5ESD_iEESI_PSC_iiiiiiiii.num_named_barrier, 0
	.set _ZN2at6native12_GLOBAL__N_128conv_depthwise3d_cuda_kernelIffLi3ELi3ELi3ELi1ELi1ELi1EEEvN5torch10headeronly6detail27GenericPackedTensorAccessorINS5_14TensorAccessorIN3c108ArrayRefIlEEKT_Lm4ENS4_16DefaultPtrTraitsEiEENS_6detail16IndexBoundsCheckILm5EiEESC_Lm5ESD_iEENS6_INS7_ISA_SB_Lm4ESD_iEESH_SB_Lm5ESD_iEESI_PSC_iiiiiiiii.private_seg_size, 0
	.set _ZN2at6native12_GLOBAL__N_128conv_depthwise3d_cuda_kernelIffLi3ELi3ELi3ELi1ELi1ELi1EEEvN5torch10headeronly6detail27GenericPackedTensorAccessorINS5_14TensorAccessorIN3c108ArrayRefIlEEKT_Lm4ENS4_16DefaultPtrTraitsEiEENS_6detail16IndexBoundsCheckILm5EiEESC_Lm5ESD_iEENS6_INS7_ISA_SB_Lm4ESD_iEESH_SB_Lm5ESD_iEESI_PSC_iiiiiiiii.uses_vcc, 1
	.set _ZN2at6native12_GLOBAL__N_128conv_depthwise3d_cuda_kernelIffLi3ELi3ELi3ELi1ELi1ELi1EEEvN5torch10headeronly6detail27GenericPackedTensorAccessorINS5_14TensorAccessorIN3c108ArrayRefIlEEKT_Lm4ENS4_16DefaultPtrTraitsEiEENS_6detail16IndexBoundsCheckILm5EiEESC_Lm5ESD_iEENS6_INS7_ISA_SB_Lm4ESD_iEESH_SB_Lm5ESD_iEESI_PSC_iiiiiiiii.uses_flat_scratch, 0
	.set _ZN2at6native12_GLOBAL__N_128conv_depthwise3d_cuda_kernelIffLi3ELi3ELi3ELi1ELi1ELi1EEEvN5torch10headeronly6detail27GenericPackedTensorAccessorINS5_14TensorAccessorIN3c108ArrayRefIlEEKT_Lm4ENS4_16DefaultPtrTraitsEiEENS_6detail16IndexBoundsCheckILm5EiEESC_Lm5ESD_iEENS6_INS7_ISA_SB_Lm4ESD_iEESH_SB_Lm5ESD_iEESI_PSC_iiiiiiiii.has_dyn_sized_stack, 0
	.set _ZN2at6native12_GLOBAL__N_128conv_depthwise3d_cuda_kernelIffLi3ELi3ELi3ELi1ELi1ELi1EEEvN5torch10headeronly6detail27GenericPackedTensorAccessorINS5_14TensorAccessorIN3c108ArrayRefIlEEKT_Lm4ENS4_16DefaultPtrTraitsEiEENS_6detail16IndexBoundsCheckILm5EiEESC_Lm5ESD_iEENS6_INS7_ISA_SB_Lm4ESD_iEESH_SB_Lm5ESD_iEESI_PSC_iiiiiiiii.has_recursion, 0
	.set _ZN2at6native12_GLOBAL__N_128conv_depthwise3d_cuda_kernelIffLi3ELi3ELi3ELi1ELi1ELi1EEEvN5torch10headeronly6detail27GenericPackedTensorAccessorINS5_14TensorAccessorIN3c108ArrayRefIlEEKT_Lm4ENS4_16DefaultPtrTraitsEiEENS_6detail16IndexBoundsCheckILm5EiEESC_Lm5ESD_iEENS6_INS7_ISA_SB_Lm4ESD_iEESH_SB_Lm5ESD_iEESI_PSC_iiiiiiiii.has_indirect_call, 0
	.section	.AMDGPU.csdata,"",@progbits
; Kernel info:
; codeLenInByte = 3948
; TotalNumSgprs: 84
; NumVgprs: 24
; ScratchSize: 0
; MemoryBound: 0
; FloatMode: 240
; IeeeMode: 1
; LDSByteSize: 0 bytes/workgroup (compile time only)
; SGPRBlocks: 0
; VGPRBlocks: 1
; NumSGPRsForWavesPerEU: 84
; NumVGPRsForWavesPerEU: 24
; NamedBarCnt: 0
; Occupancy: 16
; WaveLimiterHint : 0
; COMPUTE_PGM_RSRC2:SCRATCH_EN: 0
; COMPUTE_PGM_RSRC2:USER_SGPR: 2
; COMPUTE_PGM_RSRC2:TRAP_HANDLER: 0
; COMPUTE_PGM_RSRC2:TGID_X_EN: 1
; COMPUTE_PGM_RSRC2:TGID_Y_EN: 0
; COMPUTE_PGM_RSRC2:TGID_Z_EN: 0
; COMPUTE_PGM_RSRC2:TIDIG_COMP_CNT: 0
	.section	.text._ZN2at6native12_GLOBAL__N_128conv_depthwise3d_cuda_kernelIffLin1ELin1ELin1ELi1ELi1ELi1EEEvN5torch10headeronly6detail27GenericPackedTensorAccessorINS5_14TensorAccessorIN3c108ArrayRefIlEEKT_Lm4ENS4_16DefaultPtrTraitsEiEENS_6detail16IndexBoundsCheckILm5EiEESC_Lm5ESD_iEENS6_INS7_ISA_SB_Lm4ESD_iEESH_SB_Lm5ESD_iEESI_PSC_iiiiiiiii,"axG",@progbits,_ZN2at6native12_GLOBAL__N_128conv_depthwise3d_cuda_kernelIffLin1ELin1ELin1ELi1ELi1ELi1EEEvN5torch10headeronly6detail27GenericPackedTensorAccessorINS5_14TensorAccessorIN3c108ArrayRefIlEEKT_Lm4ENS4_16DefaultPtrTraitsEiEENS_6detail16IndexBoundsCheckILm5EiEESC_Lm5ESD_iEENS6_INS7_ISA_SB_Lm4ESD_iEESH_SB_Lm5ESD_iEESI_PSC_iiiiiiiii,comdat
	.globl	_ZN2at6native12_GLOBAL__N_128conv_depthwise3d_cuda_kernelIffLin1ELin1ELin1ELi1ELi1ELi1EEEvN5torch10headeronly6detail27GenericPackedTensorAccessorINS5_14TensorAccessorIN3c108ArrayRefIlEEKT_Lm4ENS4_16DefaultPtrTraitsEiEENS_6detail16IndexBoundsCheckILm5EiEESC_Lm5ESD_iEENS6_INS7_ISA_SB_Lm4ESD_iEESH_SB_Lm5ESD_iEESI_PSC_iiiiiiiii ; -- Begin function _ZN2at6native12_GLOBAL__N_128conv_depthwise3d_cuda_kernelIffLin1ELin1ELin1ELi1ELi1ELi1EEEvN5torch10headeronly6detail27GenericPackedTensorAccessorINS5_14TensorAccessorIN3c108ArrayRefIlEEKT_Lm4ENS4_16DefaultPtrTraitsEiEENS_6detail16IndexBoundsCheckILm5EiEESC_Lm5ESD_iEENS6_INS7_ISA_SB_Lm4ESD_iEESH_SB_Lm5ESD_iEESI_PSC_iiiiiiiii
	.p2align	8
	.type	_ZN2at6native12_GLOBAL__N_128conv_depthwise3d_cuda_kernelIffLin1ELin1ELin1ELi1ELi1ELi1EEEvN5torch10headeronly6detail27GenericPackedTensorAccessorINS5_14TensorAccessorIN3c108ArrayRefIlEEKT_Lm4ENS4_16DefaultPtrTraitsEiEENS_6detail16IndexBoundsCheckILm5EiEESC_Lm5ESD_iEENS6_INS7_ISA_SB_Lm4ESD_iEESH_SB_Lm5ESD_iEESI_PSC_iiiiiiiii,@function
_ZN2at6native12_GLOBAL__N_128conv_depthwise3d_cuda_kernelIffLin1ELin1ELin1ELi1ELi1ELi1EEEvN5torch10headeronly6detail27GenericPackedTensorAccessorINS5_14TensorAccessorIN3c108ArrayRefIlEEKT_Lm4ENS4_16DefaultPtrTraitsEiEENS_6detail16IndexBoundsCheckILm5EiEESC_Lm5ESD_iEENS6_INS7_ISA_SB_Lm4ESD_iEESH_SB_Lm5ESD_iEESI_PSC_iiiiiiiii: ; @_ZN2at6native12_GLOBAL__N_128conv_depthwise3d_cuda_kernelIffLin1ELin1ELin1ELi1ELi1ELi1EEEvN5torch10headeronly6detail27GenericPackedTensorAccessorINS5_14TensorAccessorIN3c108ArrayRefIlEEKT_Lm4ENS4_16DefaultPtrTraitsEiEENS_6detail16IndexBoundsCheckILm5EiEESC_Lm5ESD_iEENS6_INS7_ISA_SB_Lm4ESD_iEESH_SB_Lm5ESD_iEESI_PSC_iiiiiiiii
; %bb.0:
	s_clause 0x2
	s_load_b128 s[4:7], s[0:1], 0xc
	s_load_b32 s2, s[0:1], 0xcc
	s_load_b64 s[28:29], s[0:1], 0x48
	s_bfe_u32 s3, ttmp6, 0x4000c
	s_load_b128 s[8:11], s[0:1], 0x38
	s_add_co_i32 s3, s3, 1
	s_and_b32 s12, ttmp6, 15
	s_mul_i32 s3, ttmp9, s3
	s_getreg_b32 s13, hwreg(HW_REG_IB_STS2, 6, 4)
	v_mov_b32_e32 v1, 0
	s_add_co_i32 s12, s12, s3
	s_mov_b32 s35, 0
	s_wait_kmcnt 0x0
	s_abs_i32 s16, s4
	s_and_b32 s2, s2, 0xffff
	s_cmp_eq_u32 s13, 0
	s_mul_i32 s30, s29, s8
	s_cselect_b32 s3, ttmp9, s12
	s_ashr_i32 s31, s30, 31
	v_mad_nc_u64_u32 v[2:3], s2, s3, v[0:1]
	s_cvt_f32_u32 s3, s16
	s_mov_b32 s8, exec_lo
	s_delay_alu instid0(SALU_CYCLE_2) | instskip(SKIP_1) | instid1(TRANS32_DEP_1)
	v_rcp_iflag_f32_e32 v0, s3
	v_nop
	v_readfirstlane_b32 s3, v0
	s_delay_alu instid0(VALU_DEP_3)
	v_cmpx_gt_i64_e64 s[30:31], v[2:3]
	s_cbranch_execz .LBB4_17
; %bb.1:
	s_mul_f32 s3, s3, 0x4f7ffffe
	s_sub_co_i32 s12, 0, s16
	s_abs_i32 s36, s9
	s_mov_b32 s37, s35
	s_cvt_u32_f32 s8, s3
	s_ashr_i32 s3, s9, 31
	s_ashr_i32 s4, s4, 31
	s_add_nc_u64 s[20:21], s[0:1], 0xc0
	s_mul_i32 s12, s12, s8
	s_xor_b32 s4, s3, s4
	s_mul_hi_u32 s12, s8, s12
	s_cvt_f32_u32 s52, s36
	s_add_co_i32 s34, s8, s12
	s_clause 0x1
	s_load_b128 s[12:15], s[0:1], 0x70
	s_load_b64 s[38:39], s[0:1], 0x90
	s_mul_u64 s[18:19], s[36:37], s[34:35]
	v_rcp_iflag_f32_e32 v5, s52
	s_mul_i32 s8, s19, s16
	s_add_co_i32 s17, s19, 1
	s_sub_co_i32 s8, s36, s8
	s_mov_b32 s59, s35
	s_sub_co_i32 s18, s8, s16
	s_cmp_ge_u32 s8, s16
	s_mov_b32 s61, s35
	s_cselect_b32 s17, s17, s19
	s_cselect_b32 s8, s18, s8
	s_add_co_i32 s18, s17, 1
	s_cmp_ge_u32 s8, s16
	s_mov_b32 s71, s35
	s_cselect_b32 s8, s18, s17
	s_clause 0x1
	s_load_b128 s[16:19], s[0:1], 0x98
	s_load_b64 s[40:41], s[0:1], 0xa8
	s_xor_b32 s8, s8, s4
	s_load_b32 s34, s[20:21], 0x0
	s_sub_co_i32 s60, s8, s4
	s_wait_kmcnt 0x0
	s_cmp_gt_i32 s12, 0
	s_cselect_b32 s4, -1, 0
	s_cmp_gt_i32 s13, 0
	s_cselect_b32 s8, -1, 0
	;; [unrolled: 2-line block ×3, first 2 shown]
	s_sub_co_i32 s20, s6, s13
	s_sub_co_i32 s42, s7, s14
	s_mul_i32 s44, s7, s20
	s_ashr_i32 s43, s42, 31
	s_ashr_i32 s45, s44, 31
	s_cmp_lg_u64 s[38:39], 0
	s_clause 0x1
	s_load_b64 s[46:47], s[0:1], 0x0
	s_load_b128 s[20:23], s[0:1], 0x1c
	s_cselect_b32 s37, -1, 0
	s_abs_i32 s62, s28
	s_abs_i32 s64, s11
	s_cvt_f32_u32 s24, s62
	s_cvt_f32_u32 s53, s64
	s_clause 0x1
	s_load_b32 s63, s[0:1], 0x2c
	s_load_b64 s[48:49], s[0:1], 0x30
	s_abs_i32 s65, s10
	v_rcp_iflag_f32_e32 v0, s24
	v_rcp_iflag_f32_e32 v4, s53
	s_clause 0x1
	s_load_b64 s[50:51], s[0:1], 0x60
	s_load_b128 s[24:27], s[0:1], 0x50
	s_mul_i32 s34, s34, s2
	s_wait_xcnt 0x0
	s_cvt_f32_u32 s1, s65
	s_sub_co_i32 s52, 0, s64
	s_abs_i32 s68, s60
	v_readfirstlane_b32 s0, v0
	v_readfirstlane_b32 s2, v4
	v_rcp_iflag_f32_e32 v0, s1
	s_mov_b32 s53, s35
	s_ashr_i32 s66, s28, 31
	s_mul_f32 s0, s0, 0x4f7ffffe
	s_mul_f32 s1, s2, 0x4f7ffffe
	s_sub_co_i32 s2, 0, s62
	s_ashr_i32 s67, s11, 31
	s_cvt_u32_f32 s0, s0
	s_cvt_u32_f32 s1, s1
	v_nop
	v_readfirstlane_b32 s55, v0
	s_ashr_i32 s69, s10, 31
	s_mul_i32 s2, s2, s0
	s_mul_i32 s54, s52, s1
	s_mul_hi_u32 s2, s0, s2
	s_ashr_i32 s70, s60, 31
	s_add_co_i32 s52, s0, s2
	s_cvt_f32_u32 s2, s68
	s_mul_hi_u32 s0, s1, s54
	s_delay_alu instid0(SALU_CYCLE_1)
	s_add_co_i32 s54, s1, s0
	s_mul_f32 s0, s55, 0x4f7ffffe
	v_rcp_iflag_f32_e32 v0, s2
	v_readfirstlane_b32 s1, v5
	s_sub_co_i32 s2, 0, s65
	s_cvt_u32_f32 s0, s0
	s_mov_b32 s55, s35
	s_mul_f32 s1, s1, 0x4f7ffffe
	s_delay_alu instid0(TRANS32_DEP_1) | instskip(SKIP_1) | instid1(SALU_CYCLE_1)
	v_readfirstlane_b32 s57, v0
	s_mul_i32 s2, s2, s0
	s_mul_hi_u32 s2, s0, s2
	s_cvt_u32_f32 s1, s1
	s_add_co_i32 s56, s0, s2
	s_sub_co_i32 s0, 0, s36
	s_mul_f32 s2, s57, 0x4f7ffffe
	s_mul_i32 s0, s0, s1
	s_mov_b32 s57, s35
	s_mul_hi_u32 s0, s1, s0
	s_cvt_u32_f32 s2, s2
	s_add_co_i32 s58, s1, s0
	s_sub_co_i32 s0, 0, s68
	s_delay_alu instid0(SALU_CYCLE_1) | instskip(NEXT) | instid1(SALU_CYCLE_1)
	s_mul_i32 s0, s0, s2
	s_mul_hi_u32 s0, s2, s0
	s_delay_alu instid0(SALU_CYCLE_1)
	s_add_co_i32 s60, s2, s0
	s_branch .LBB4_3
.LBB4_2:                                ;   in Loop: Header=BB4_3 Depth=1
	v_mul_lo_u32 v4, v11, s29
	s_wait_kmcnt 0x0
	v_mul_lo_u32 v6, s24, v12
	v_mul_lo_u32 v10, s25, v10
	s_wait_xcnt 0x0
	v_mul_lo_u32 v12, s26, v9
	v_mul_lo_u32 v8, s27, v8
	v_add_nc_u64_e32 v[2:3], s[34:35], v[2:3]
	v_dual_ashrrev_i32 v5, 31, v4 :: v_dual_ashrrev_i32 v7, 31, v6
	s_delay_alu instid0(VALU_DEP_4) | instskip(NEXT) | instid1(VALU_DEP_4)
	v_dual_ashrrev_i32 v11, 31, v10 :: v_dual_ashrrev_i32 v13, 31, v12
	v_ashrrev_i32_e32 v9, 31, v8
	s_delay_alu instid0(VALU_DEP_3) | instskip(SKIP_1) | instid1(VALU_DEP_2)
	v_lshl_add_u64 v[4:5], v[4:5], 2, s[48:49]
	v_cmp_le_i64_e32 vcc_lo, s[30:31], v[2:3]
	v_lshl_add_u64 v[4:5], v[6:7], 2, v[4:5]
	s_or_b32 s71, vcc_lo, s71
	s_delay_alu instid0(VALU_DEP_1) | instskip(NEXT) | instid1(VALU_DEP_1)
	v_lshl_add_u64 v[4:5], v[10:11], 2, v[4:5]
	v_lshl_add_u64 v[4:5], v[12:13], 2, v[4:5]
	s_delay_alu instid0(VALU_DEP_1)
	v_lshl_add_u64 v[4:5], v[8:9], 2, v[4:5]
	global_store_b32 v[4:5], v0, off
	s_wait_xcnt 0x0
	s_and_not1_b32 exec_lo, exec_lo, s71
	s_cbranch_execz .LBB4_17
.LBB4_3:                                ; =>This Loop Header: Depth=1
                                        ;     Child Loop BB4_6 Depth 2
                                        ;       Child Loop BB4_9 Depth 3
                                        ;         Child Loop BB4_12 Depth 4
	v_sub_nc_u32_e32 v0, 0, v2
	s_delay_alu instid0(VALU_DEP_1) | instskip(NEXT) | instid1(VALU_DEP_1)
	v_max_i32_e32 v0, v2, v0
	v_mul_u64_e32 v[4:5], s[52:53], v[0:1]
	s_delay_alu instid0(VALU_DEP_1) | instskip(NEXT) | instid1(VALU_DEP_1)
	v_mul_lo_u32 v4, v5, s62
	v_dual_sub_nc_u32 v0, v0, v4 :: v_dual_add_nc_u32 v4, 1, v5
	s_delay_alu instid0(VALU_DEP_1) | instskip(NEXT) | instid1(VALU_DEP_2)
	v_cmp_le_u32_e32 vcc_lo, s62, v0
	v_cndmask_b32_e32 v4, v5, v4, vcc_lo
	v_subrev_nc_u32_e32 v6, s62, v0
	v_ashrrev_i32_e32 v5, 31, v2
	s_delay_alu instid0(VALU_DEP_2) | instskip(NEXT) | instid1(VALU_DEP_1)
	v_dual_cndmask_b32 v0, v0, v6, vcc_lo :: v_dual_add_nc_u32 v6, 1, v4
	v_cmp_le_u32_e32 vcc_lo, s62, v0
	s_delay_alu instid0(VALU_DEP_2) | instskip(NEXT) | instid1(VALU_DEP_1)
	v_dual_cndmask_b32 v0, v4, v6, vcc_lo :: v_dual_bitop2_b32 v5, s66, v5 bitop3:0x14
	v_xor_b32_e32 v0, v0, v5
	s_delay_alu instid0(VALU_DEP_1) | instskip(NEXT) | instid1(VALU_DEP_1)
	v_sub_nc_u32_e32 v6, v0, v5
	v_sub_nc_u32_e32 v0, 0, v6
	s_delay_alu instid0(VALU_DEP_1) | instskip(NEXT) | instid1(VALU_DEP_1)
	v_max_i32_e32 v0, v6, v0
	v_mul_u64_e32 v[4:5], s[54:55], v[0:1]
	s_delay_alu instid0(VALU_DEP_1) | instskip(NEXT) | instid1(VALU_DEP_1)
	v_mul_lo_u32 v4, v5, s64
	v_dual_sub_nc_u32 v0, v0, v4 :: v_dual_add_nc_u32 v4, 1, v5
	s_delay_alu instid0(VALU_DEP_1) | instskip(SKIP_1) | instid1(VALU_DEP_2)
	v_subrev_nc_u32_e32 v7, s64, v0
	v_cmp_le_u32_e32 vcc_lo, s64, v0
	v_dual_cndmask_b32 v4, v5, v4, vcc_lo :: v_dual_cndmask_b32 v0, v0, v7, vcc_lo
	s_delay_alu instid0(VALU_DEP_1) | instskip(NEXT) | instid1(VALU_DEP_2)
	v_dual_ashrrev_i32 v5, 31, v6 :: v_dual_add_nc_u32 v7, 1, v4
	v_cmp_le_u32_e32 vcc_lo, s64, v0
	s_delay_alu instid0(VALU_DEP_2) | instskip(NEXT) | instid1(VALU_DEP_1)
	v_dual_cndmask_b32 v0, v4, v7, vcc_lo :: v_dual_bitop2_b32 v5, s67, v5 bitop3:0x14
	v_xor_b32_e32 v0, v0, v5
	s_delay_alu instid0(VALU_DEP_1) | instskip(NEXT) | instid1(VALU_DEP_1)
	v_sub_nc_u32_e32 v7, v0, v5
	v_sub_nc_u32_e32 v0, 0, v7
	s_delay_alu instid0(VALU_DEP_1) | instskip(NEXT) | instid1(VALU_DEP_1)
	v_max_i32_e32 v0, v7, v0
	v_mul_u64_e32 v[4:5], s[56:57], v[0:1]
	s_delay_alu instid0(VALU_DEP_1) | instskip(NEXT) | instid1(VALU_DEP_1)
	v_mul_lo_u32 v4, v5, s65
	v_dual_sub_nc_u32 v0, v0, v4 :: v_dual_add_nc_u32 v4, 1, v5
	s_delay_alu instid0(VALU_DEP_1) | instskip(SKIP_1) | instid1(VALU_DEP_3)
	v_subrev_nc_u32_e32 v8, s65, v0
	v_cmp_le_u32_e32 vcc_lo, s65, v0
	v_dual_cndmask_b32 v4, v5, v4 :: v_dual_ashrrev_i32 v5, 31, v7
	s_delay_alu instid0(VALU_DEP_1) | instskip(NEXT) | instid1(VALU_DEP_2)
	v_dual_cndmask_b32 v0, v0, v8, vcc_lo :: v_dual_bitop2_b32 v5, s69, v5 bitop3:0x14
	v_add_nc_u32_e32 v8, 1, v4
	s_delay_alu instid0(VALU_DEP_2) | instskip(NEXT) | instid1(VALU_DEP_2)
	v_cmp_le_u32_e32 vcc_lo, s65, v0
	v_cndmask_b32_e32 v0, v4, v8, vcc_lo
	s_delay_alu instid0(VALU_DEP_1) | instskip(NEXT) | instid1(VALU_DEP_1)
	v_xor_b32_e32 v0, v0, v5
	v_sub_nc_u32_e32 v12, v0, v5
	s_delay_alu instid0(VALU_DEP_1) | instskip(NEXT) | instid1(VALU_DEP_1)
	v_sub_nc_u32_e32 v0, 0, v12
	v_max_i32_e32 v0, v12, v0
	s_delay_alu instid0(VALU_DEP_1) | instskip(NEXT) | instid1(VALU_DEP_1)
	v_mul_u64_e32 v[4:5], s[58:59], v[0:1]
	v_mul_lo_u32 v4, v5, s36
	s_delay_alu instid0(VALU_DEP_1) | instskip(NEXT) | instid1(VALU_DEP_1)
	v_dual_sub_nc_u32 v0, v0, v4 :: v_dual_add_nc_u32 v4, 1, v5
	v_subrev_nc_u32_e32 v8, s36, v0
	v_cmp_le_u32_e32 vcc_lo, s36, v0
	s_delay_alu instid0(VALU_DEP_3) | instskip(SKIP_1) | instid1(VALU_DEP_1)
	v_cndmask_b32_e32 v4, v5, v4, vcc_lo
	v_ashrrev_i32_e32 v5, 31, v12
	v_dual_cndmask_b32 v0, v0, v8, vcc_lo :: v_dual_bitop2_b32 v5, s3, v5 bitop3:0x14
	s_delay_alu instid0(VALU_DEP_3) | instskip(NEXT) | instid1(VALU_DEP_2)
	v_add_nc_u32_e32 v8, 1, v4
	v_cmp_le_u32_e32 vcc_lo, s36, v0
	s_delay_alu instid0(VALU_DEP_2) | instskip(SKIP_2) | instid1(VALU_DEP_2)
	v_cndmask_b32_e32 v0, v4, v8, vcc_lo
	v_mul_lo_u32 v4, v7, s11
	s_and_not1_b32 vcc_lo, exec_lo, s4
	v_xor_b32_e32 v0, v0, v5
	s_delay_alu instid0(VALU_DEP_1) | instskip(SKIP_2) | instid1(VALU_DEP_2)
	v_sub_nc_u32_e32 v11, v0, v5
	v_mul_lo_u32 v0, v6, s28
	v_mul_lo_u32 v5, v12, s10
	v_sub_nc_u32_e32 v8, v2, v0
	s_delay_alu instid0(VALU_DEP_4) | instskip(NEXT) | instid1(VALU_DEP_3)
	v_mul_lo_u32 v13, v11, s9
	v_dual_sub_nc_u32 v9, v6, v4 :: v_dual_sub_nc_u32 v10, v7, v5
	s_delay_alu instid0(VALU_DEP_2)
	v_sub_nc_u32_e32 v12, v12, v13
	s_cbranch_vccnz .LBB4_14
; %bb.4:                                ;   in Loop: Header=BB4_3 Depth=1
	s_delay_alu instid0(VALU_DEP_1) | instskip(NEXT) | instid1(VALU_DEP_3)
	v_sub_nc_u32_e32 v0, 0, v12
	v_mul_lo_u32 v7, v9, s17
	v_mul_lo_u32 v15, v8, s18
	;; [unrolled: 1-line block ×3, first 2 shown]
	s_mov_b32 s72, 0
	v_max_i32_e32 v0, v12, v0
	s_delay_alu instid0(VALU_DEP_1) | instskip(SKIP_3) | instid1(VALU_DEP_2)
	v_mul_u64_e32 v[4:5], s[60:61], v[0:1]
	v_subrev_nc_u32_e32 v14, s40, v7
	v_subrev_nc_u32_e32 v15, s41, v15
	s_wait_kmcnt 0x0
	v_mul_lo_u32 v18, s23, v14
	s_delay_alu instid0(VALU_DEP_2) | instskip(NEXT) | instid1(VALU_DEP_2)
	v_mul_lo_u32 v22, s63, v15
	v_dual_ashrrev_i32 v21, 31, v20 :: v_dual_ashrrev_i32 v19, 31, v18
	s_delay_alu instid0(VALU_DEP_2) | instskip(SKIP_1) | instid1(VALU_DEP_1)
	v_ashrrev_i32_e32 v23, 31, v22
	v_mul_lo_u32 v4, v5, s68
	v_dual_sub_nc_u32 v0, v0, v4 :: v_dual_add_nc_u32 v4, 1, v5
	s_delay_alu instid0(VALU_DEP_1) | instskip(NEXT) | instid1(VALU_DEP_2)
	v_cmp_le_u32_e32 vcc_lo, s68, v0
	v_cndmask_b32_e32 v4, v5, v4, vcc_lo
	v_subrev_nc_u32_e32 v6, s68, v0
	s_delay_alu instid0(VALU_DEP_1) | instskip(NEXT) | instid1(VALU_DEP_1)
	v_dual_cndmask_b32 v0, v0, v6 :: v_dual_ashrrev_i32 v5, 31, v12
	v_dual_add_nc_u32 v6, 1, v4 :: v_dual_bitop2_b32 v5, s70, v5 bitop3:0x14
	s_delay_alu instid0(VALU_DEP_2) | instskip(NEXT) | instid1(VALU_DEP_2)
	v_cmp_le_u32_e32 vcc_lo, s68, v0
	v_cndmask_b32_e32 v0, v4, v6, vcc_lo
	v_mul_lo_u32 v6, v10, s16
	v_mul_lo_u32 v4, s20, v11
	s_delay_alu instid0(VALU_DEP_2) | instskip(NEXT) | instid1(VALU_DEP_1)
	v_subrev_nc_u32_e32 v13, s19, v6
	v_mul_lo_u32 v16, s22, v13
	s_delay_alu instid0(VALU_DEP_1) | instskip(NEXT) | instid1(VALU_DEP_1)
	v_dual_ashrrev_i32 v17, 31, v16 :: v_dual_bitop2_b32 v0, v0, v5 bitop3:0x14
	v_dual_sub_nc_u32 v0, v0, v5 :: v_dual_ashrrev_i32 v5, 31, v4
	s_delay_alu instid0(VALU_DEP_1) | instskip(NEXT) | instid1(VALU_DEP_2)
	v_mul_lo_u32 v6, s21, v0
	v_lshl_add_u64 v[4:5], v[4:5], 2, s[46:47]
	s_delay_alu instid0(VALU_DEP_2) | instskip(NEXT) | instid1(VALU_DEP_1)
	v_dual_mov_b32 v0, 0 :: v_dual_ashrrev_i32 v7, 31, v6
	v_lshl_add_u64 v[4:5], v[6:7], 2, v[4:5]
	s_delay_alu instid0(VALU_DEP_1) | instskip(NEXT) | instid1(VALU_DEP_1)
	v_lshl_add_u64 v[4:5], v[16:17], 2, v[4:5]
	v_lshl_add_u64 v[6:7], v[18:19], 2, v[4:5]
	v_lshl_add_u64 v[4:5], v[20:21], 2, s[50:51]
	s_delay_alu instid0(VALU_DEP_2)
	v_lshl_add_u64 v[6:7], v[22:23], 2, v[6:7]
	s_branch .LBB4_6
.LBB4_5:                                ;   in Loop: Header=BB4_6 Depth=2
	s_delay_alu instid0(VALU_DEP_1) | instskip(SKIP_1) | instid1(SALU_CYCLE_1)
	v_lshl_add_u64 v[6:7], s[44:45], 2, v[6:7]
	s_add_co_i32 s72, s72, 1
	s_cmp_eq_u32 s72, s12
	s_cbranch_scc1 .LBB4_15
.LBB4_6:                                ;   Parent Loop BB4_3 Depth=1
                                        ; =>  This Loop Header: Depth=2
                                        ;       Child Loop BB4_9 Depth 3
                                        ;         Child Loop BB4_12 Depth 4
	s_and_not1_b32 vcc_lo, exec_lo, s8
	s_cbranch_vccnz .LBB4_5
; %bb.7:                                ;   in Loop: Header=BB4_6 Depth=2
	v_add_nc_u32_e32 v16, s72, v13
	s_mov_b32 s73, 0
	s_delay_alu instid0(VALU_DEP_1)
	v_cmp_lt_i32_e64 s0, -1, v16
	v_cmp_gt_i32_e64 s1, s5, v16
	s_branch .LBB4_9
.LBB4_8:                                ;   in Loop: Header=BB4_9 Depth=3
	s_delay_alu instid0(VALU_DEP_2) | instskip(SKIP_1) | instid1(SALU_CYCLE_1)
	v_lshl_add_u64 v[6:7], s[42:43], 2, v[6:7]
	s_add_co_i32 s73, s73, 1
	s_cmp_eq_u32 s73, s13
	s_cbranch_scc1 .LBB4_5
.LBB4_9:                                ;   Parent Loop BB4_3 Depth=1
                                        ;     Parent Loop BB4_6 Depth=2
                                        ; =>    This Loop Header: Depth=3
                                        ;         Child Loop BB4_12 Depth 4
	s_and_not1_b32 vcc_lo, exec_lo, s33
	s_cbranch_vccnz .LBB4_8
; %bb.10:                               ;   in Loop: Header=BB4_9 Depth=3
	v_dual_mov_b32 v16, v15 :: v_dual_add_nc_u32 v17, s73, v14
	s_mov_b32 s75, s14
	s_delay_alu instid0(VALU_DEP_1)
	v_cmp_lt_i32_e64 s2, -1, v17
	v_cmp_gt_i32_e32 vcc_lo, s6, v17
	s_and_b32 s74, s0, s2
	s_branch .LBB4_12
.LBB4_11:                               ;   in Loop: Header=BB4_12 Depth=4
	s_wait_xcnt 0x0
	s_or_b32 exec_lo, exec_lo, s2
	v_add_nc_u64_e32 v[4:5], 4, v[4:5]
	v_add_nc_u64_e32 v[6:7], 4, v[6:7]
	v_add_nc_u32_e32 v16, 1, v16
	s_add_co_i32 s75, s75, -1
	s_delay_alu instid0(SALU_CYCLE_1)
	s_cmp_eq_u32 s75, 0
	s_cbranch_scc1 .LBB4_8
.LBB4_12:                               ;   Parent Loop BB4_3 Depth=1
                                        ;     Parent Loop BB4_6 Depth=2
                                        ;       Parent Loop BB4_9 Depth=3
                                        ; =>      This Inner Loop Header: Depth=4
	s_delay_alu instid0(VALU_DEP_1) | instskip(SKIP_3) | instid1(SALU_CYCLE_1)
	v_cmp_lt_i32_e64 s2, -1, v16
	s_and_b32 s76, s74, s2
	v_cmp_gt_i32_e64 s2, s7, v16
	s_and_b32 s76, s76, s1
	s_and_b32 s76, s76, vcc_lo
	s_delay_alu instid0(SALU_CYCLE_1) | instskip(NEXT) | instid1(SALU_CYCLE_1)
	s_and_b32 s76, s76, s2
	s_and_saveexec_b32 s2, s76
	s_cbranch_execz .LBB4_11
; %bb.13:                               ;   in Loop: Header=BB4_12 Depth=4
	global_load_b32 v17, v[4:5], off
	global_load_b32 v18, v[6:7], off
	s_wait_loadcnt 0x0
	v_fmac_f32_e32 v0, v17, v18
	s_branch .LBB4_11
.LBB4_14:                               ;   in Loop: Header=BB4_3 Depth=1
	v_mov_b32_e32 v0, 0
.LBB4_15:                               ;   in Loop: Header=BB4_3 Depth=1
	s_and_b32 vcc_lo, exec_lo, s37
	s_cbranch_vccz .LBB4_2
; %bb.16:                               ;   in Loop: Header=BB4_3 Depth=1
	global_load_b32 v4, v12, s[38:39] scale_offset
	s_wait_loadcnt 0x0
	v_add_f32_e32 v0, v0, v4
	s_branch .LBB4_2
.LBB4_17:
	s_endpgm
	.section	.rodata,"a",@progbits
	.p2align	6, 0x0
	.amdhsa_kernel _ZN2at6native12_GLOBAL__N_128conv_depthwise3d_cuda_kernelIffLin1ELin1ELin1ELi1ELi1ELi1EEEvN5torch10headeronly6detail27GenericPackedTensorAccessorINS5_14TensorAccessorIN3c108ArrayRefIlEEKT_Lm4ENS4_16DefaultPtrTraitsEiEENS_6detail16IndexBoundsCheckILm5EiEESC_Lm5ESD_iEENS6_INS7_ISA_SB_Lm4ESD_iEESH_SB_Lm5ESD_iEESI_PSC_iiiiiiiii
		.amdhsa_group_segment_fixed_size 0
		.amdhsa_private_segment_fixed_size 0
		.amdhsa_kernarg_size 448
		.amdhsa_user_sgpr_count 2
		.amdhsa_user_sgpr_dispatch_ptr 0
		.amdhsa_user_sgpr_queue_ptr 0
		.amdhsa_user_sgpr_kernarg_segment_ptr 1
		.amdhsa_user_sgpr_dispatch_id 0
		.amdhsa_user_sgpr_kernarg_preload_length 0
		.amdhsa_user_sgpr_kernarg_preload_offset 0
		.amdhsa_user_sgpr_private_segment_size 0
		.amdhsa_wavefront_size32 1
		.amdhsa_uses_dynamic_stack 0
		.amdhsa_enable_private_segment 0
		.amdhsa_system_sgpr_workgroup_id_x 1
		.amdhsa_system_sgpr_workgroup_id_y 0
		.amdhsa_system_sgpr_workgroup_id_z 0
		.amdhsa_system_sgpr_workgroup_info 0
		.amdhsa_system_vgpr_workitem_id 0
		.amdhsa_next_free_vgpr 24
		.amdhsa_next_free_sgpr 77
		.amdhsa_named_barrier_count 0
		.amdhsa_reserve_vcc 1
		.amdhsa_float_round_mode_32 0
		.amdhsa_float_round_mode_16_64 0
		.amdhsa_float_denorm_mode_32 3
		.amdhsa_float_denorm_mode_16_64 3
		.amdhsa_fp16_overflow 0
		.amdhsa_memory_ordered 1
		.amdhsa_forward_progress 1
		.amdhsa_inst_pref_size 16
		.amdhsa_round_robin_scheduling 0
		.amdhsa_exception_fp_ieee_invalid_op 0
		.amdhsa_exception_fp_denorm_src 0
		.amdhsa_exception_fp_ieee_div_zero 0
		.amdhsa_exception_fp_ieee_overflow 0
		.amdhsa_exception_fp_ieee_underflow 0
		.amdhsa_exception_fp_ieee_inexact 0
		.amdhsa_exception_int_div_zero 0
	.end_amdhsa_kernel
	.section	.text._ZN2at6native12_GLOBAL__N_128conv_depthwise3d_cuda_kernelIffLin1ELin1ELin1ELi1ELi1ELi1EEEvN5torch10headeronly6detail27GenericPackedTensorAccessorINS5_14TensorAccessorIN3c108ArrayRefIlEEKT_Lm4ENS4_16DefaultPtrTraitsEiEENS_6detail16IndexBoundsCheckILm5EiEESC_Lm5ESD_iEENS6_INS7_ISA_SB_Lm4ESD_iEESH_SB_Lm5ESD_iEESI_PSC_iiiiiiiii,"axG",@progbits,_ZN2at6native12_GLOBAL__N_128conv_depthwise3d_cuda_kernelIffLin1ELin1ELin1ELi1ELi1ELi1EEEvN5torch10headeronly6detail27GenericPackedTensorAccessorINS5_14TensorAccessorIN3c108ArrayRefIlEEKT_Lm4ENS4_16DefaultPtrTraitsEiEENS_6detail16IndexBoundsCheckILm5EiEESC_Lm5ESD_iEENS6_INS7_ISA_SB_Lm4ESD_iEESH_SB_Lm5ESD_iEESI_PSC_iiiiiiiii,comdat
.Lfunc_end4:
	.size	_ZN2at6native12_GLOBAL__N_128conv_depthwise3d_cuda_kernelIffLin1ELin1ELin1ELi1ELi1ELi1EEEvN5torch10headeronly6detail27GenericPackedTensorAccessorINS5_14TensorAccessorIN3c108ArrayRefIlEEKT_Lm4ENS4_16DefaultPtrTraitsEiEENS_6detail16IndexBoundsCheckILm5EiEESC_Lm5ESD_iEENS6_INS7_ISA_SB_Lm4ESD_iEESH_SB_Lm5ESD_iEESI_PSC_iiiiiiiii, .Lfunc_end4-_ZN2at6native12_GLOBAL__N_128conv_depthwise3d_cuda_kernelIffLin1ELin1ELin1ELi1ELi1ELi1EEEvN5torch10headeronly6detail27GenericPackedTensorAccessorINS5_14TensorAccessorIN3c108ArrayRefIlEEKT_Lm4ENS4_16DefaultPtrTraitsEiEENS_6detail16IndexBoundsCheckILm5EiEESC_Lm5ESD_iEENS6_INS7_ISA_SB_Lm4ESD_iEESH_SB_Lm5ESD_iEESI_PSC_iiiiiiiii
                                        ; -- End function
	.set _ZN2at6native12_GLOBAL__N_128conv_depthwise3d_cuda_kernelIffLin1ELin1ELin1ELi1ELi1ELi1EEEvN5torch10headeronly6detail27GenericPackedTensorAccessorINS5_14TensorAccessorIN3c108ArrayRefIlEEKT_Lm4ENS4_16DefaultPtrTraitsEiEENS_6detail16IndexBoundsCheckILm5EiEESC_Lm5ESD_iEENS6_INS7_ISA_SB_Lm4ESD_iEESH_SB_Lm5ESD_iEESI_PSC_iiiiiiiii.num_vgpr, 24
	.set _ZN2at6native12_GLOBAL__N_128conv_depthwise3d_cuda_kernelIffLin1ELin1ELin1ELi1ELi1ELi1EEEvN5torch10headeronly6detail27GenericPackedTensorAccessorINS5_14TensorAccessorIN3c108ArrayRefIlEEKT_Lm4ENS4_16DefaultPtrTraitsEiEENS_6detail16IndexBoundsCheckILm5EiEESC_Lm5ESD_iEENS6_INS7_ISA_SB_Lm4ESD_iEESH_SB_Lm5ESD_iEESI_PSC_iiiiiiiii.num_agpr, 0
	.set _ZN2at6native12_GLOBAL__N_128conv_depthwise3d_cuda_kernelIffLin1ELin1ELin1ELi1ELi1ELi1EEEvN5torch10headeronly6detail27GenericPackedTensorAccessorINS5_14TensorAccessorIN3c108ArrayRefIlEEKT_Lm4ENS4_16DefaultPtrTraitsEiEENS_6detail16IndexBoundsCheckILm5EiEESC_Lm5ESD_iEENS6_INS7_ISA_SB_Lm4ESD_iEESH_SB_Lm5ESD_iEESI_PSC_iiiiiiiii.numbered_sgpr, 77
	.set _ZN2at6native12_GLOBAL__N_128conv_depthwise3d_cuda_kernelIffLin1ELin1ELin1ELi1ELi1ELi1EEEvN5torch10headeronly6detail27GenericPackedTensorAccessorINS5_14TensorAccessorIN3c108ArrayRefIlEEKT_Lm4ENS4_16DefaultPtrTraitsEiEENS_6detail16IndexBoundsCheckILm5EiEESC_Lm5ESD_iEENS6_INS7_ISA_SB_Lm4ESD_iEESH_SB_Lm5ESD_iEESI_PSC_iiiiiiiii.num_named_barrier, 0
	.set _ZN2at6native12_GLOBAL__N_128conv_depthwise3d_cuda_kernelIffLin1ELin1ELin1ELi1ELi1ELi1EEEvN5torch10headeronly6detail27GenericPackedTensorAccessorINS5_14TensorAccessorIN3c108ArrayRefIlEEKT_Lm4ENS4_16DefaultPtrTraitsEiEENS_6detail16IndexBoundsCheckILm5EiEESC_Lm5ESD_iEENS6_INS7_ISA_SB_Lm4ESD_iEESH_SB_Lm5ESD_iEESI_PSC_iiiiiiiii.private_seg_size, 0
	.set _ZN2at6native12_GLOBAL__N_128conv_depthwise3d_cuda_kernelIffLin1ELin1ELin1ELi1ELi1ELi1EEEvN5torch10headeronly6detail27GenericPackedTensorAccessorINS5_14TensorAccessorIN3c108ArrayRefIlEEKT_Lm4ENS4_16DefaultPtrTraitsEiEENS_6detail16IndexBoundsCheckILm5EiEESC_Lm5ESD_iEENS6_INS7_ISA_SB_Lm4ESD_iEESH_SB_Lm5ESD_iEESI_PSC_iiiiiiiii.uses_vcc, 1
	.set _ZN2at6native12_GLOBAL__N_128conv_depthwise3d_cuda_kernelIffLin1ELin1ELin1ELi1ELi1ELi1EEEvN5torch10headeronly6detail27GenericPackedTensorAccessorINS5_14TensorAccessorIN3c108ArrayRefIlEEKT_Lm4ENS4_16DefaultPtrTraitsEiEENS_6detail16IndexBoundsCheckILm5EiEESC_Lm5ESD_iEENS6_INS7_ISA_SB_Lm4ESD_iEESH_SB_Lm5ESD_iEESI_PSC_iiiiiiiii.uses_flat_scratch, 0
	.set _ZN2at6native12_GLOBAL__N_128conv_depthwise3d_cuda_kernelIffLin1ELin1ELin1ELi1ELi1ELi1EEEvN5torch10headeronly6detail27GenericPackedTensorAccessorINS5_14TensorAccessorIN3c108ArrayRefIlEEKT_Lm4ENS4_16DefaultPtrTraitsEiEENS_6detail16IndexBoundsCheckILm5EiEESC_Lm5ESD_iEENS6_INS7_ISA_SB_Lm4ESD_iEESH_SB_Lm5ESD_iEESI_PSC_iiiiiiiii.has_dyn_sized_stack, 0
	.set _ZN2at6native12_GLOBAL__N_128conv_depthwise3d_cuda_kernelIffLin1ELin1ELin1ELi1ELi1ELi1EEEvN5torch10headeronly6detail27GenericPackedTensorAccessorINS5_14TensorAccessorIN3c108ArrayRefIlEEKT_Lm4ENS4_16DefaultPtrTraitsEiEENS_6detail16IndexBoundsCheckILm5EiEESC_Lm5ESD_iEENS6_INS7_ISA_SB_Lm4ESD_iEESH_SB_Lm5ESD_iEESI_PSC_iiiiiiiii.has_recursion, 0
	.set _ZN2at6native12_GLOBAL__N_128conv_depthwise3d_cuda_kernelIffLin1ELin1ELin1ELi1ELi1ELi1EEEvN5torch10headeronly6detail27GenericPackedTensorAccessorINS5_14TensorAccessorIN3c108ArrayRefIlEEKT_Lm4ENS4_16DefaultPtrTraitsEiEENS_6detail16IndexBoundsCheckILm5EiEESC_Lm5ESD_iEENS6_INS7_ISA_SB_Lm4ESD_iEESH_SB_Lm5ESD_iEESI_PSC_iiiiiiiii.has_indirect_call, 0
	.section	.AMDGPU.csdata,"",@progbits
; Kernel info:
; codeLenInByte = 1988
; TotalNumSgprs: 79
; NumVgprs: 24
; ScratchSize: 0
; MemoryBound: 0
; FloatMode: 240
; IeeeMode: 1
; LDSByteSize: 0 bytes/workgroup (compile time only)
; SGPRBlocks: 0
; VGPRBlocks: 1
; NumSGPRsForWavesPerEU: 79
; NumVGPRsForWavesPerEU: 24
; NamedBarCnt: 0
; Occupancy: 16
; WaveLimiterHint : 0
; COMPUTE_PGM_RSRC2:SCRATCH_EN: 0
; COMPUTE_PGM_RSRC2:USER_SGPR: 2
; COMPUTE_PGM_RSRC2:TRAP_HANDLER: 0
; COMPUTE_PGM_RSRC2:TGID_X_EN: 1
; COMPUTE_PGM_RSRC2:TGID_Y_EN: 0
; COMPUTE_PGM_RSRC2:TGID_Z_EN: 0
; COMPUTE_PGM_RSRC2:TIDIG_COMP_CNT: 0
	.section	.text._ZN2at6native12_GLOBAL__N_128conv_depthwise3d_cuda_kernelIffLin1ELin1ELin1ELin1ELin1ELin1EEEvN5torch10headeronly6detail27GenericPackedTensorAccessorINS5_14TensorAccessorIN3c108ArrayRefIlEEKT_Lm4ENS4_16DefaultPtrTraitsEiEENS_6detail16IndexBoundsCheckILm5EiEESC_Lm5ESD_iEENS6_INS7_ISA_SB_Lm4ESD_iEESH_SB_Lm5ESD_iEESI_PSC_iiiiiiiii,"axG",@progbits,_ZN2at6native12_GLOBAL__N_128conv_depthwise3d_cuda_kernelIffLin1ELin1ELin1ELin1ELin1ELin1EEEvN5torch10headeronly6detail27GenericPackedTensorAccessorINS5_14TensorAccessorIN3c108ArrayRefIlEEKT_Lm4ENS4_16DefaultPtrTraitsEiEENS_6detail16IndexBoundsCheckILm5EiEESC_Lm5ESD_iEENS6_INS7_ISA_SB_Lm4ESD_iEESH_SB_Lm5ESD_iEESI_PSC_iiiiiiiii,comdat
	.globl	_ZN2at6native12_GLOBAL__N_128conv_depthwise3d_cuda_kernelIffLin1ELin1ELin1ELin1ELin1ELin1EEEvN5torch10headeronly6detail27GenericPackedTensorAccessorINS5_14TensorAccessorIN3c108ArrayRefIlEEKT_Lm4ENS4_16DefaultPtrTraitsEiEENS_6detail16IndexBoundsCheckILm5EiEESC_Lm5ESD_iEENS6_INS7_ISA_SB_Lm4ESD_iEESH_SB_Lm5ESD_iEESI_PSC_iiiiiiiii ; -- Begin function _ZN2at6native12_GLOBAL__N_128conv_depthwise3d_cuda_kernelIffLin1ELin1ELin1ELin1ELin1ELin1EEEvN5torch10headeronly6detail27GenericPackedTensorAccessorINS5_14TensorAccessorIN3c108ArrayRefIlEEKT_Lm4ENS4_16DefaultPtrTraitsEiEENS_6detail16IndexBoundsCheckILm5EiEESC_Lm5ESD_iEENS6_INS7_ISA_SB_Lm4ESD_iEESH_SB_Lm5ESD_iEESI_PSC_iiiiiiiii
	.p2align	8
	.type	_ZN2at6native12_GLOBAL__N_128conv_depthwise3d_cuda_kernelIffLin1ELin1ELin1ELin1ELin1ELin1EEEvN5torch10headeronly6detail27GenericPackedTensorAccessorINS5_14TensorAccessorIN3c108ArrayRefIlEEKT_Lm4ENS4_16DefaultPtrTraitsEiEENS_6detail16IndexBoundsCheckILm5EiEESC_Lm5ESD_iEENS6_INS7_ISA_SB_Lm4ESD_iEESH_SB_Lm5ESD_iEESI_PSC_iiiiiiiii,@function
_ZN2at6native12_GLOBAL__N_128conv_depthwise3d_cuda_kernelIffLin1ELin1ELin1ELin1ELin1ELin1EEEvN5torch10headeronly6detail27GenericPackedTensorAccessorINS5_14TensorAccessorIN3c108ArrayRefIlEEKT_Lm4ENS4_16DefaultPtrTraitsEiEENS_6detail16IndexBoundsCheckILm5EiEESC_Lm5ESD_iEENS6_INS7_ISA_SB_Lm4ESD_iEESH_SB_Lm5ESD_iEESI_PSC_iiiiiiiii: ; @_ZN2at6native12_GLOBAL__N_128conv_depthwise3d_cuda_kernelIffLin1ELin1ELin1ELin1ELin1ELin1EEEvN5torch10headeronly6detail27GenericPackedTensorAccessorINS5_14TensorAccessorIN3c108ArrayRefIlEEKT_Lm4ENS4_16DefaultPtrTraitsEiEENS_6detail16IndexBoundsCheckILm5EiEESC_Lm5ESD_iEENS6_INS7_ISA_SB_Lm4ESD_iEESH_SB_Lm5ESD_iEESI_PSC_iiiiiiiii
; %bb.0:
	s_clause 0x2
	s_load_b128 s[12:15], s[0:1], 0xc
	s_load_b32 s2, s[0:1], 0xcc
	s_load_b64 s[34:35], s[0:1], 0x48
	s_bfe_u32 s3, ttmp6, 0x4000c
	s_load_b128 s[16:19], s[0:1], 0x38
	s_add_co_i32 s3, s3, 1
	s_and_b32 s4, ttmp6, 15
	s_mul_i32 s3, ttmp9, s3
	s_getreg_b32 s5, hwreg(HW_REG_IB_STS2, 6, 4)
	v_mov_b32_e32 v1, 0
	s_add_co_i32 s4, s4, s3
	s_mov_b32 s39, 0
	s_wait_kmcnt 0x0
	s_abs_i32 s24, s12
	s_and_b32 s2, s2, 0xffff
	s_cmp_eq_u32 s5, 0
	s_mul_i32 s36, s35, s16
	s_cselect_b32 s3, ttmp9, s4
	s_ashr_i32 s37, s36, 31
	v_mad_nc_u64_u32 v[2:3], s2, s3, v[0:1]
	s_cvt_f32_u32 s3, s24
	s_mov_b32 s4, exec_lo
	s_delay_alu instid0(SALU_CYCLE_2) | instskip(SKIP_1) | instid1(TRANS32_DEP_1)
	v_rcp_iflag_f32_e32 v0, s3
	v_nop
	v_readfirstlane_b32 s3, v0
	s_delay_alu instid0(VALU_DEP_3)
	v_cmpx_gt_i64_e64 s[36:37], v[2:3]
	s_cbranch_execz .LBB5_17
; %bb.1:
	s_mul_f32 s3, s3, 0x4f7ffffe
	s_sub_co_i32 s4, 0, s24
	s_abs_i32 s40, s17
	s_mov_b32 s41, s39
	s_cvt_u32_f32 s16, s3
	s_ashr_i32 s3, s17, 31
	s_ashr_i32 s12, s12, 31
	s_load_b32 s42, s[0:1], 0xb8
	s_mul_i32 s4, s4, s16
	s_xor_b32 s12, s3, s12
	s_mul_hi_u32 s20, s16, s4
	s_load_b256 s[4:11], s[0:1], 0x98
	s_add_co_i32 s38, s16, s20
	s_clause 0x1
	s_load_b128 s[20:23], s[0:1], 0x70
	s_load_b64 s[44:45], s[0:1], 0x90
	s_mul_u64 s[26:27], s[40:41], s[38:39]
	s_mov_b32 s59, s39
	s_mul_i32 s16, s27, s24
	s_add_co_i32 s25, s27, 1
	s_sub_co_i32 s16, s40, s16
	s_mov_b32 s65, s39
	s_sub_co_i32 s26, s16, s24
	s_cmp_ge_u32 s16, s24
	s_cselect_b32 s25, s25, s27
	s_cselect_b32 s16, s26, s16
	s_add_co_i32 s26, s25, 1
	s_cmp_ge_u32 s16, s24
	s_cselect_b32 s16, s26, s25
	s_add_nc_u64 s[24:25], s[0:1], 0xc0
	s_xor_b32 s16, s16, s12
	s_load_b32 s38, s[24:25], 0x0
	s_sub_co_i32 s64, s16, s12
	s_wait_kmcnt 0x0
	s_cmp_gt_i32 s20, 0
	s_mul_i32 s25, s14, s10
	s_cselect_b32 s12, -1, 0
	s_cmp_gt_i32 s21, 0
	s_mul_i32 s26, s21, s11
	s_cselect_b32 s16, -1, 0
	;; [unrolled: 3-line block ×3, first 2 shown]
	s_mul_i32 s27, s22, s42
	s_sub_co_i32 s25, s25, s26
	s_sub_co_i32 s46, s24, s27
	s_mul_i32 s48, s25, s15
	s_ashr_i32 s43, s42, 31
	s_ashr_i32 s47, s46, 31
	;; [unrolled: 1-line block ×3, first 2 shown]
	s_cmp_lg_u64 s[44:45], 0
	s_cselect_b32 s41, -1, 0
	s_abs_i32 s68, s34
	s_abs_i32 s69, s19
	s_cvt_f32_u32 s24, s68
	s_cvt_f32_u32 s28, s69
	s_abs_i32 s71, s18
	s_mul_i32 s38, s38, s2
	v_rcp_iflag_f32_e32 v0, s24
	v_rcp_iflag_f32_e32 v4, s28
	s_clause 0x5
	s_load_b64 s[50:51], s[0:1], 0x0
	s_load_b128 s[24:27], s[0:1], 0x1c
	s_load_b32 s70, s[0:1], 0x2c
	s_load_b64 s[52:53], s[0:1], 0x30
	s_load_b64 s[54:55], s[0:1], 0x60
	s_load_b128 s[28:31], s[0:1], 0x50
	s_cvt_f32_u32 s2, s71
	s_sub_co_i32 s57, 0, s68
	s_wait_xcnt 0x0
	s_cvt_f32_u32 s0, s40
	v_readfirstlane_b32 s56, v0
	v_rcp_iflag_f32_e32 v0, s2
	s_abs_i32 s73, s64
	s_sub_co_i32 s58, 0, s69
	s_sub_co_i32 s63, 0, s73
	s_mul_f32 s1, s56, 0x4f7ffffe
	v_readfirstlane_b32 s56, v4
	s_ashr_i32 s72, s34, 31
	s_ashr_i32 s74, s19, 31
	s_cvt_u32_f32 s1, s1
	s_ashr_i32 s75, s18, 31
	s_mul_f32 s2, s56, 0x4f7ffffe
	s_ashr_i32 s76, s64, 31
	s_mul_i32 s57, s57, s1
	s_lshl_b64 s[66:67], s[42:43], 2
	s_mul_hi_u32 s56, s1, s57
	s_cvt_u32_f32 s2, s2
	s_add_co_i32 s56, s1, s56
	v_readfirstlane_b32 s1, v0
	v_rcp_iflag_f32_e32 v0, s0
	s_mul_i32 s58, s58, s2
	s_mov_b32 s57, s39
	s_mul_hi_u32 s58, s2, s58
	s_mul_f32 s0, s1, 0x4f7ffffe
	s_cvt_f32_u32 s1, s73
	s_add_co_i32 s58, s2, s58
	s_sub_co_i32 s2, 0, s71
	s_cvt_u32_f32 s0, s0
	v_rcp_iflag_f32_e32 v4, s1
	v_nop
	v_readfirstlane_b32 s1, v0
	s_mov_b32 s43, s39
	s_mul_i32 s2, s2, s0
	s_delay_alu instid0(SALU_CYCLE_1)
	s_mul_hi_u32 s2, s0, s2
	s_mul_f32 s1, s1, 0x4f7ffffe
	v_readfirstlane_b32 s61, v4
	s_add_co_i32 s60, s0, s2
	s_sub_co_i32 s2, 0, s40
	s_cvt_u32_f32 s0, s1
	s_mul_f32 s1, s61, 0x4f7ffffe
	s_mov_b32 s61, s39
	s_delay_alu instid0(SALU_CYCLE_1) | instskip(NEXT) | instid1(SALU_CYCLE_1)
	s_mul_i32 s2, s2, s0
	s_cvt_u32_f32 s1, s1
	s_mul_hi_u32 s2, s0, s2
	s_delay_alu instid0(SALU_CYCLE_1) | instskip(NEXT) | instid1(SALU_CYCLE_1)
	s_add_co_i32 s62, s0, s2
	s_mul_i32 s0, s63, s1
	s_mov_b32 s63, s39
	s_mul_hi_u32 s0, s1, s0
	s_delay_alu instid0(SALU_CYCLE_1)
	s_add_co_i32 s64, s1, s0
	s_branch .LBB5_3
.LBB5_2:                                ;   in Loop: Header=BB5_3 Depth=1
	v_mul_lo_u32 v4, v11, s35
	s_wait_kmcnt 0x0
	v_mul_lo_u32 v6, s28, v12
	v_mul_lo_u32 v10, s29, v10
	s_wait_xcnt 0x0
	v_mul_lo_u32 v12, s30, v9
	v_mul_lo_u32 v8, s31, v8
	v_add_nc_u64_e32 v[2:3], s[38:39], v[2:3]
	v_dual_ashrrev_i32 v5, 31, v4 :: v_dual_ashrrev_i32 v7, 31, v6
	s_delay_alu instid0(VALU_DEP_4) | instskip(NEXT) | instid1(VALU_DEP_4)
	v_dual_ashrrev_i32 v11, 31, v10 :: v_dual_ashrrev_i32 v13, 31, v12
	v_ashrrev_i32_e32 v9, 31, v8
	s_delay_alu instid0(VALU_DEP_3) | instskip(SKIP_1) | instid1(VALU_DEP_2)
	v_lshl_add_u64 v[4:5], v[4:5], 2, s[52:53]
	v_cmp_le_i64_e32 vcc_lo, s[36:37], v[2:3]
	v_lshl_add_u64 v[4:5], v[6:7], 2, v[4:5]
	s_or_b32 s43, vcc_lo, s43
	s_delay_alu instid0(VALU_DEP_1) | instskip(NEXT) | instid1(VALU_DEP_1)
	v_lshl_add_u64 v[4:5], v[10:11], 2, v[4:5]
	v_lshl_add_u64 v[4:5], v[12:13], 2, v[4:5]
	s_delay_alu instid0(VALU_DEP_1)
	v_lshl_add_u64 v[4:5], v[8:9], 2, v[4:5]
	global_store_b32 v[4:5], v0, off
	s_wait_xcnt 0x0
	s_and_not1_b32 exec_lo, exec_lo, s43
	s_cbranch_execz .LBB5_17
.LBB5_3:                                ; =>This Loop Header: Depth=1
                                        ;     Child Loop BB5_6 Depth 2
                                        ;       Child Loop BB5_9 Depth 3
                                        ;         Child Loop BB5_12 Depth 4
	v_sub_nc_u32_e32 v0, 0, v2
	s_delay_alu instid0(VALU_DEP_1) | instskip(NEXT) | instid1(VALU_DEP_1)
	v_max_i32_e32 v0, v2, v0
	v_mul_u64_e32 v[4:5], s[56:57], v[0:1]
	s_delay_alu instid0(VALU_DEP_1) | instskip(NEXT) | instid1(VALU_DEP_1)
	v_mul_lo_u32 v4, v5, s68
	v_dual_sub_nc_u32 v0, v0, v4 :: v_dual_add_nc_u32 v4, 1, v5
	s_delay_alu instid0(VALU_DEP_1) | instskip(NEXT) | instid1(VALU_DEP_2)
	v_cmp_le_u32_e32 vcc_lo, s68, v0
	v_cndmask_b32_e32 v4, v5, v4, vcc_lo
	v_subrev_nc_u32_e32 v6, s68, v0
	v_ashrrev_i32_e32 v5, 31, v2
	s_delay_alu instid0(VALU_DEP_2) | instskip(NEXT) | instid1(VALU_DEP_1)
	v_dual_cndmask_b32 v0, v0, v6, vcc_lo :: v_dual_add_nc_u32 v6, 1, v4
	v_cmp_le_u32_e32 vcc_lo, s68, v0
	s_delay_alu instid0(VALU_DEP_2) | instskip(NEXT) | instid1(VALU_DEP_1)
	v_dual_cndmask_b32 v0, v4, v6, vcc_lo :: v_dual_bitop2_b32 v5, s72, v5 bitop3:0x14
	v_xor_b32_e32 v0, v0, v5
	s_delay_alu instid0(VALU_DEP_1) | instskip(NEXT) | instid1(VALU_DEP_1)
	v_sub_nc_u32_e32 v6, v0, v5
	v_sub_nc_u32_e32 v0, 0, v6
	s_delay_alu instid0(VALU_DEP_1) | instskip(NEXT) | instid1(VALU_DEP_1)
	v_max_i32_e32 v0, v6, v0
	v_mul_u64_e32 v[4:5], s[58:59], v[0:1]
	s_delay_alu instid0(VALU_DEP_1) | instskip(NEXT) | instid1(VALU_DEP_1)
	v_mul_lo_u32 v4, v5, s69
	v_dual_sub_nc_u32 v0, v0, v4 :: v_dual_add_nc_u32 v4, 1, v5
	s_delay_alu instid0(VALU_DEP_1) | instskip(SKIP_1) | instid1(VALU_DEP_2)
	v_subrev_nc_u32_e32 v7, s69, v0
	v_cmp_le_u32_e32 vcc_lo, s69, v0
	v_dual_cndmask_b32 v4, v5, v4, vcc_lo :: v_dual_cndmask_b32 v0, v0, v7, vcc_lo
	s_delay_alu instid0(VALU_DEP_1) | instskip(NEXT) | instid1(VALU_DEP_2)
	v_dual_ashrrev_i32 v5, 31, v6 :: v_dual_add_nc_u32 v7, 1, v4
	v_cmp_le_u32_e32 vcc_lo, s69, v0
	s_delay_alu instid0(VALU_DEP_2) | instskip(NEXT) | instid1(VALU_DEP_1)
	v_dual_cndmask_b32 v0, v4, v7, vcc_lo :: v_dual_bitop2_b32 v5, s74, v5 bitop3:0x14
	v_xor_b32_e32 v0, v0, v5
	s_delay_alu instid0(VALU_DEP_1) | instskip(NEXT) | instid1(VALU_DEP_1)
	v_sub_nc_u32_e32 v7, v0, v5
	v_sub_nc_u32_e32 v0, 0, v7
	s_delay_alu instid0(VALU_DEP_1) | instskip(NEXT) | instid1(VALU_DEP_1)
	v_max_i32_e32 v0, v7, v0
	v_mul_u64_e32 v[4:5], s[60:61], v[0:1]
	s_delay_alu instid0(VALU_DEP_1) | instskip(NEXT) | instid1(VALU_DEP_1)
	v_mul_lo_u32 v4, v5, s71
	v_dual_sub_nc_u32 v0, v0, v4 :: v_dual_add_nc_u32 v4, 1, v5
	s_delay_alu instid0(VALU_DEP_1) | instskip(SKIP_1) | instid1(VALU_DEP_3)
	v_subrev_nc_u32_e32 v8, s71, v0
	v_cmp_le_u32_e32 vcc_lo, s71, v0
	v_dual_cndmask_b32 v4, v5, v4 :: v_dual_ashrrev_i32 v5, 31, v7
	s_delay_alu instid0(VALU_DEP_1) | instskip(NEXT) | instid1(VALU_DEP_2)
	v_dual_cndmask_b32 v0, v0, v8, vcc_lo :: v_dual_bitop2_b32 v5, s75, v5 bitop3:0x14
	v_add_nc_u32_e32 v8, 1, v4
	s_delay_alu instid0(VALU_DEP_2) | instskip(NEXT) | instid1(VALU_DEP_2)
	v_cmp_le_u32_e32 vcc_lo, s71, v0
	v_cndmask_b32_e32 v0, v4, v8, vcc_lo
	s_delay_alu instid0(VALU_DEP_1) | instskip(NEXT) | instid1(VALU_DEP_1)
	v_xor_b32_e32 v0, v0, v5
	v_sub_nc_u32_e32 v12, v0, v5
	s_delay_alu instid0(VALU_DEP_1) | instskip(NEXT) | instid1(VALU_DEP_1)
	v_sub_nc_u32_e32 v0, 0, v12
	v_max_i32_e32 v0, v12, v0
	s_delay_alu instid0(VALU_DEP_1) | instskip(NEXT) | instid1(VALU_DEP_1)
	v_mul_u64_e32 v[4:5], s[62:63], v[0:1]
	v_mul_lo_u32 v4, v5, s40
	s_delay_alu instid0(VALU_DEP_1) | instskip(NEXT) | instid1(VALU_DEP_1)
	v_dual_sub_nc_u32 v0, v0, v4 :: v_dual_add_nc_u32 v4, 1, v5
	v_subrev_nc_u32_e32 v8, s40, v0
	v_cmp_le_u32_e32 vcc_lo, s40, v0
	s_delay_alu instid0(VALU_DEP_3) | instskip(SKIP_1) | instid1(VALU_DEP_1)
	v_cndmask_b32_e32 v4, v5, v4, vcc_lo
	v_ashrrev_i32_e32 v5, 31, v12
	v_dual_cndmask_b32 v0, v0, v8, vcc_lo :: v_dual_bitop2_b32 v5, s3, v5 bitop3:0x14
	s_delay_alu instid0(VALU_DEP_3) | instskip(NEXT) | instid1(VALU_DEP_2)
	v_add_nc_u32_e32 v8, 1, v4
	v_cmp_le_u32_e32 vcc_lo, s40, v0
	s_delay_alu instid0(VALU_DEP_2) | instskip(SKIP_2) | instid1(VALU_DEP_2)
	v_cndmask_b32_e32 v0, v4, v8, vcc_lo
	v_mul_lo_u32 v4, v7, s19
	s_and_not1_b32 vcc_lo, exec_lo, s12
	v_xor_b32_e32 v0, v0, v5
	s_delay_alu instid0(VALU_DEP_1) | instskip(SKIP_2) | instid1(VALU_DEP_2)
	v_sub_nc_u32_e32 v11, v0, v5
	v_mul_lo_u32 v0, v6, s34
	v_mul_lo_u32 v5, v12, s18
	v_sub_nc_u32_e32 v8, v2, v0
	s_delay_alu instid0(VALU_DEP_4) | instskip(NEXT) | instid1(VALU_DEP_3)
	v_mul_lo_u32 v13, v11, s17
	v_dual_sub_nc_u32 v9, v6, v4 :: v_dual_sub_nc_u32 v10, v7, v5
	s_delay_alu instid0(VALU_DEP_2)
	v_sub_nc_u32_e32 v12, v12, v13
	s_cbranch_vccnz .LBB5_14
; %bb.4:                                ;   in Loop: Header=BB5_3 Depth=1
	s_delay_alu instid0(VALU_DEP_1) | instskip(NEXT) | instid1(VALU_DEP_3)
	v_sub_nc_u32_e32 v0, 0, v12
	v_mul_lo_u32 v7, v9, s5
	v_mul_lo_u32 v15, v8, s6
	;; [unrolled: 1-line block ×3, first 2 shown]
	s_mov_b32 s77, 0
	v_max_i32_e32 v0, v12, v0
	s_delay_alu instid0(VALU_DEP_1) | instskip(SKIP_3) | instid1(VALU_DEP_2)
	v_mul_u64_e32 v[4:5], s[64:65], v[0:1]
	v_subrev_nc_u32_e32 v14, s8, v7
	v_subrev_nc_u32_e32 v15, s9, v15
	s_wait_kmcnt 0x0
	v_mul_lo_u32 v18, s27, v14
	s_delay_alu instid0(VALU_DEP_2) | instskip(NEXT) | instid1(VALU_DEP_2)
	v_mul_lo_u32 v22, s70, v15
	v_dual_ashrrev_i32 v21, 31, v20 :: v_dual_ashrrev_i32 v19, 31, v18
	s_delay_alu instid0(VALU_DEP_2) | instskip(SKIP_1) | instid1(VALU_DEP_1)
	v_ashrrev_i32_e32 v23, 31, v22
	v_mul_lo_u32 v4, v5, s73
	v_dual_sub_nc_u32 v0, v0, v4 :: v_dual_add_nc_u32 v4, 1, v5
	s_delay_alu instid0(VALU_DEP_1) | instskip(NEXT) | instid1(VALU_DEP_2)
	v_cmp_le_u32_e32 vcc_lo, s73, v0
	v_cndmask_b32_e32 v4, v5, v4, vcc_lo
	v_subrev_nc_u32_e32 v6, s73, v0
	s_delay_alu instid0(VALU_DEP_1) | instskip(NEXT) | instid1(VALU_DEP_1)
	v_dual_cndmask_b32 v0, v0, v6 :: v_dual_ashrrev_i32 v5, 31, v12
	v_dual_add_nc_u32 v6, 1, v4 :: v_dual_bitop2_b32 v5, s76, v5 bitop3:0x14
	s_delay_alu instid0(VALU_DEP_2) | instskip(NEXT) | instid1(VALU_DEP_2)
	v_cmp_le_u32_e32 vcc_lo, s73, v0
	v_cndmask_b32_e32 v0, v4, v6, vcc_lo
	v_mul_lo_u32 v6, v10, s4
	v_mul_lo_u32 v4, s24, v11
	s_delay_alu instid0(VALU_DEP_2) | instskip(NEXT) | instid1(VALU_DEP_1)
	v_subrev_nc_u32_e32 v13, s7, v6
	v_mul_lo_u32 v16, s26, v13
	s_delay_alu instid0(VALU_DEP_1) | instskip(NEXT) | instid1(VALU_DEP_1)
	v_dual_ashrrev_i32 v17, 31, v16 :: v_dual_bitop2_b32 v0, v0, v5 bitop3:0x14
	v_dual_sub_nc_u32 v0, v0, v5 :: v_dual_ashrrev_i32 v5, 31, v4
	s_delay_alu instid0(VALU_DEP_1) | instskip(NEXT) | instid1(VALU_DEP_2)
	v_mul_lo_u32 v6, s25, v0
	v_lshl_add_u64 v[4:5], v[4:5], 2, s[50:51]
	s_delay_alu instid0(VALU_DEP_2) | instskip(NEXT) | instid1(VALU_DEP_1)
	v_dual_mov_b32 v0, 0 :: v_dual_ashrrev_i32 v7, 31, v6
	v_lshl_add_u64 v[4:5], v[6:7], 2, v[4:5]
	s_delay_alu instid0(VALU_DEP_1) | instskip(NEXT) | instid1(VALU_DEP_1)
	v_lshl_add_u64 v[4:5], v[16:17], 2, v[4:5]
	v_lshl_add_u64 v[6:7], v[18:19], 2, v[4:5]
	;; [unrolled: 1-line block ×3, first 2 shown]
	s_delay_alu instid0(VALU_DEP_2)
	v_lshl_add_u64 v[6:7], v[22:23], 2, v[6:7]
	s_branch .LBB5_6
.LBB5_5:                                ;   in Loop: Header=BB5_6 Depth=2
	s_delay_alu instid0(VALU_DEP_1) | instskip(SKIP_1) | instid1(SALU_CYCLE_1)
	v_lshl_add_u64 v[6:7], s[48:49], 2, v[6:7]
	s_add_co_i32 s77, s77, 1
	s_cmp_eq_u32 s77, s20
	s_cbranch_scc1 .LBB5_15
.LBB5_6:                                ;   Parent Loop BB5_3 Depth=1
                                        ; =>  This Loop Header: Depth=2
                                        ;       Child Loop BB5_9 Depth 3
                                        ;         Child Loop BB5_12 Depth 4
	s_and_not1_b32 vcc_lo, exec_lo, s16
	s_cbranch_vccnz .LBB5_5
; %bb.7:                                ;   in Loop: Header=BB5_6 Depth=2
	v_mad_u32 v16, s77, s10, v13
	s_mov_b32 s78, 0
	s_delay_alu instid0(VALU_DEP_1)
	v_cmp_lt_i32_e64 s0, -1, v16
	v_cmp_gt_i32_e64 s1, s13, v16
	s_branch .LBB5_9
.LBB5_8:                                ;   in Loop: Header=BB5_9 Depth=3
	s_delay_alu instid0(VALU_DEP_2) | instskip(SKIP_1) | instid1(SALU_CYCLE_1)
	v_lshl_add_u64 v[6:7], s[46:47], 2, v[6:7]
	s_add_co_i32 s78, s78, 1
	s_cmp_eq_u32 s78, s21
	s_cbranch_scc1 .LBB5_5
.LBB5_9:                                ;   Parent Loop BB5_3 Depth=1
                                        ;     Parent Loop BB5_6 Depth=2
                                        ; =>    This Loop Header: Depth=3
                                        ;         Child Loop BB5_12 Depth 4
	s_and_not1_b32 vcc_lo, exec_lo, s33
	s_cbranch_vccnz .LBB5_8
; %bb.10:                               ;   in Loop: Header=BB5_9 Depth=3
	v_mad_u32 v17, s78, s11, v14
	v_mov_b32_e32 v16, v15
	s_mov_b32 s80, s22
	s_delay_alu instid0(VALU_DEP_2)
	v_cmp_lt_i32_e64 s2, -1, v17
	v_cmp_gt_i32_e32 vcc_lo, s14, v17
	s_and_b32 s79, s0, s2
	s_branch .LBB5_12
.LBB5_11:                               ;   in Loop: Header=BB5_12 Depth=4
	s_wait_xcnt 0x0
	s_or_b32 exec_lo, exec_lo, s2
	v_add_nc_u64_e32 v[4:5], 4, v[4:5]
	v_add_nc_u64_e32 v[6:7], s[66:67], v[6:7]
	v_add_nc_u32_e32 v16, s42, v16
	s_add_co_i32 s80, s80, -1
	s_delay_alu instid0(SALU_CYCLE_1)
	s_cmp_eq_u32 s80, 0
	s_cbranch_scc1 .LBB5_8
.LBB5_12:                               ;   Parent Loop BB5_3 Depth=1
                                        ;     Parent Loop BB5_6 Depth=2
                                        ;       Parent Loop BB5_9 Depth=3
                                        ; =>      This Inner Loop Header: Depth=4
	s_delay_alu instid0(VALU_DEP_1) | instskip(SKIP_3) | instid1(SALU_CYCLE_1)
	v_cmp_lt_i32_e64 s2, -1, v16
	s_and_b32 s81, s79, s2
	v_cmp_gt_i32_e64 s2, s15, v16
	s_and_b32 s81, s81, s1
	s_and_b32 s81, s81, vcc_lo
	s_delay_alu instid0(SALU_CYCLE_1) | instskip(NEXT) | instid1(SALU_CYCLE_1)
	s_and_b32 s81, s81, s2
	s_and_saveexec_b32 s2, s81
	s_cbranch_execz .LBB5_11
; %bb.13:                               ;   in Loop: Header=BB5_12 Depth=4
	global_load_b32 v17, v[4:5], off
	global_load_b32 v18, v[6:7], off
	s_wait_loadcnt 0x0
	v_fmac_f32_e32 v0, v17, v18
	s_branch .LBB5_11
.LBB5_14:                               ;   in Loop: Header=BB5_3 Depth=1
	v_mov_b32_e32 v0, 0
.LBB5_15:                               ;   in Loop: Header=BB5_3 Depth=1
	s_and_b32 vcc_lo, exec_lo, s41
	s_cbranch_vccz .LBB5_2
; %bb.16:                               ;   in Loop: Header=BB5_3 Depth=1
	global_load_b32 v4, v12, s[44:45] scale_offset
	s_wait_loadcnt 0x0
	v_add_f32_e32 v0, v0, v4
	s_branch .LBB5_2
.LBB5_17:
	s_endpgm
	.section	.rodata,"a",@progbits
	.p2align	6, 0x0
	.amdhsa_kernel _ZN2at6native12_GLOBAL__N_128conv_depthwise3d_cuda_kernelIffLin1ELin1ELin1ELin1ELin1ELin1EEEvN5torch10headeronly6detail27GenericPackedTensorAccessorINS5_14TensorAccessorIN3c108ArrayRefIlEEKT_Lm4ENS4_16DefaultPtrTraitsEiEENS_6detail16IndexBoundsCheckILm5EiEESC_Lm5ESD_iEENS6_INS7_ISA_SB_Lm4ESD_iEESH_SB_Lm5ESD_iEESI_PSC_iiiiiiiii
		.amdhsa_group_segment_fixed_size 0
		.amdhsa_private_segment_fixed_size 0
		.amdhsa_kernarg_size 448
		.amdhsa_user_sgpr_count 2
		.amdhsa_user_sgpr_dispatch_ptr 0
		.amdhsa_user_sgpr_queue_ptr 0
		.amdhsa_user_sgpr_kernarg_segment_ptr 1
		.amdhsa_user_sgpr_dispatch_id 0
		.amdhsa_user_sgpr_kernarg_preload_length 0
		.amdhsa_user_sgpr_kernarg_preload_offset 0
		.amdhsa_user_sgpr_private_segment_size 0
		.amdhsa_wavefront_size32 1
		.amdhsa_uses_dynamic_stack 0
		.amdhsa_enable_private_segment 0
		.amdhsa_system_sgpr_workgroup_id_x 1
		.amdhsa_system_sgpr_workgroup_id_y 0
		.amdhsa_system_sgpr_workgroup_id_z 0
		.amdhsa_system_sgpr_workgroup_info 0
		.amdhsa_system_vgpr_workitem_id 0
		.amdhsa_next_free_vgpr 24
		.amdhsa_next_free_sgpr 82
		.amdhsa_named_barrier_count 0
		.amdhsa_reserve_vcc 1
		.amdhsa_float_round_mode_32 0
		.amdhsa_float_round_mode_16_64 0
		.amdhsa_float_denorm_mode_32 3
		.amdhsa_float_denorm_mode_16_64 3
		.amdhsa_fp16_overflow 0
		.amdhsa_memory_ordered 1
		.amdhsa_forward_progress 1
		.amdhsa_inst_pref_size 16
		.amdhsa_round_robin_scheduling 0
		.amdhsa_exception_fp_ieee_invalid_op 0
		.amdhsa_exception_fp_denorm_src 0
		.amdhsa_exception_fp_ieee_div_zero 0
		.amdhsa_exception_fp_ieee_overflow 0
		.amdhsa_exception_fp_ieee_underflow 0
		.amdhsa_exception_fp_ieee_inexact 0
		.amdhsa_exception_int_div_zero 0
	.end_amdhsa_kernel
	.section	.text._ZN2at6native12_GLOBAL__N_128conv_depthwise3d_cuda_kernelIffLin1ELin1ELin1ELin1ELin1ELin1EEEvN5torch10headeronly6detail27GenericPackedTensorAccessorINS5_14TensorAccessorIN3c108ArrayRefIlEEKT_Lm4ENS4_16DefaultPtrTraitsEiEENS_6detail16IndexBoundsCheckILm5EiEESC_Lm5ESD_iEENS6_INS7_ISA_SB_Lm4ESD_iEESH_SB_Lm5ESD_iEESI_PSC_iiiiiiiii,"axG",@progbits,_ZN2at6native12_GLOBAL__N_128conv_depthwise3d_cuda_kernelIffLin1ELin1ELin1ELin1ELin1ELin1EEEvN5torch10headeronly6detail27GenericPackedTensorAccessorINS5_14TensorAccessorIN3c108ArrayRefIlEEKT_Lm4ENS4_16DefaultPtrTraitsEiEENS_6detail16IndexBoundsCheckILm5EiEESC_Lm5ESD_iEENS6_INS7_ISA_SB_Lm4ESD_iEESH_SB_Lm5ESD_iEESI_PSC_iiiiiiiii,comdat
.Lfunc_end5:
	.size	_ZN2at6native12_GLOBAL__N_128conv_depthwise3d_cuda_kernelIffLin1ELin1ELin1ELin1ELin1ELin1EEEvN5torch10headeronly6detail27GenericPackedTensorAccessorINS5_14TensorAccessorIN3c108ArrayRefIlEEKT_Lm4ENS4_16DefaultPtrTraitsEiEENS_6detail16IndexBoundsCheckILm5EiEESC_Lm5ESD_iEENS6_INS7_ISA_SB_Lm4ESD_iEESH_SB_Lm5ESD_iEESI_PSC_iiiiiiiii, .Lfunc_end5-_ZN2at6native12_GLOBAL__N_128conv_depthwise3d_cuda_kernelIffLin1ELin1ELin1ELin1ELin1ELin1EEEvN5torch10headeronly6detail27GenericPackedTensorAccessorINS5_14TensorAccessorIN3c108ArrayRefIlEEKT_Lm4ENS4_16DefaultPtrTraitsEiEENS_6detail16IndexBoundsCheckILm5EiEESC_Lm5ESD_iEENS6_INS7_ISA_SB_Lm4ESD_iEESH_SB_Lm5ESD_iEESI_PSC_iiiiiiiii
                                        ; -- End function
	.set _ZN2at6native12_GLOBAL__N_128conv_depthwise3d_cuda_kernelIffLin1ELin1ELin1ELin1ELin1ELin1EEEvN5torch10headeronly6detail27GenericPackedTensorAccessorINS5_14TensorAccessorIN3c108ArrayRefIlEEKT_Lm4ENS4_16DefaultPtrTraitsEiEENS_6detail16IndexBoundsCheckILm5EiEESC_Lm5ESD_iEENS6_INS7_ISA_SB_Lm4ESD_iEESH_SB_Lm5ESD_iEESI_PSC_iiiiiiiii.num_vgpr, 24
	.set _ZN2at6native12_GLOBAL__N_128conv_depthwise3d_cuda_kernelIffLin1ELin1ELin1ELin1ELin1ELin1EEEvN5torch10headeronly6detail27GenericPackedTensorAccessorINS5_14TensorAccessorIN3c108ArrayRefIlEEKT_Lm4ENS4_16DefaultPtrTraitsEiEENS_6detail16IndexBoundsCheckILm5EiEESC_Lm5ESD_iEENS6_INS7_ISA_SB_Lm4ESD_iEESH_SB_Lm5ESD_iEESI_PSC_iiiiiiiii.num_agpr, 0
	.set _ZN2at6native12_GLOBAL__N_128conv_depthwise3d_cuda_kernelIffLin1ELin1ELin1ELin1ELin1ELin1EEEvN5torch10headeronly6detail27GenericPackedTensorAccessorINS5_14TensorAccessorIN3c108ArrayRefIlEEKT_Lm4ENS4_16DefaultPtrTraitsEiEENS_6detail16IndexBoundsCheckILm5EiEESC_Lm5ESD_iEENS6_INS7_ISA_SB_Lm4ESD_iEESH_SB_Lm5ESD_iEESI_PSC_iiiiiiiii.numbered_sgpr, 82
	.set _ZN2at6native12_GLOBAL__N_128conv_depthwise3d_cuda_kernelIffLin1ELin1ELin1ELin1ELin1ELin1EEEvN5torch10headeronly6detail27GenericPackedTensorAccessorINS5_14TensorAccessorIN3c108ArrayRefIlEEKT_Lm4ENS4_16DefaultPtrTraitsEiEENS_6detail16IndexBoundsCheckILm5EiEESC_Lm5ESD_iEENS6_INS7_ISA_SB_Lm4ESD_iEESH_SB_Lm5ESD_iEESI_PSC_iiiiiiiii.num_named_barrier, 0
	.set _ZN2at6native12_GLOBAL__N_128conv_depthwise3d_cuda_kernelIffLin1ELin1ELin1ELin1ELin1ELin1EEEvN5torch10headeronly6detail27GenericPackedTensorAccessorINS5_14TensorAccessorIN3c108ArrayRefIlEEKT_Lm4ENS4_16DefaultPtrTraitsEiEENS_6detail16IndexBoundsCheckILm5EiEESC_Lm5ESD_iEENS6_INS7_ISA_SB_Lm4ESD_iEESH_SB_Lm5ESD_iEESI_PSC_iiiiiiiii.private_seg_size, 0
	.set _ZN2at6native12_GLOBAL__N_128conv_depthwise3d_cuda_kernelIffLin1ELin1ELin1ELin1ELin1ELin1EEEvN5torch10headeronly6detail27GenericPackedTensorAccessorINS5_14TensorAccessorIN3c108ArrayRefIlEEKT_Lm4ENS4_16DefaultPtrTraitsEiEENS_6detail16IndexBoundsCheckILm5EiEESC_Lm5ESD_iEENS6_INS7_ISA_SB_Lm4ESD_iEESH_SB_Lm5ESD_iEESI_PSC_iiiiiiiii.uses_vcc, 1
	.set _ZN2at6native12_GLOBAL__N_128conv_depthwise3d_cuda_kernelIffLin1ELin1ELin1ELin1ELin1ELin1EEEvN5torch10headeronly6detail27GenericPackedTensorAccessorINS5_14TensorAccessorIN3c108ArrayRefIlEEKT_Lm4ENS4_16DefaultPtrTraitsEiEENS_6detail16IndexBoundsCheckILm5EiEESC_Lm5ESD_iEENS6_INS7_ISA_SB_Lm4ESD_iEESH_SB_Lm5ESD_iEESI_PSC_iiiiiiiii.uses_flat_scratch, 0
	.set _ZN2at6native12_GLOBAL__N_128conv_depthwise3d_cuda_kernelIffLin1ELin1ELin1ELin1ELin1ELin1EEEvN5torch10headeronly6detail27GenericPackedTensorAccessorINS5_14TensorAccessorIN3c108ArrayRefIlEEKT_Lm4ENS4_16DefaultPtrTraitsEiEENS_6detail16IndexBoundsCheckILm5EiEESC_Lm5ESD_iEENS6_INS7_ISA_SB_Lm4ESD_iEESH_SB_Lm5ESD_iEESI_PSC_iiiiiiiii.has_dyn_sized_stack, 0
	.set _ZN2at6native12_GLOBAL__N_128conv_depthwise3d_cuda_kernelIffLin1ELin1ELin1ELin1ELin1ELin1EEEvN5torch10headeronly6detail27GenericPackedTensorAccessorINS5_14TensorAccessorIN3c108ArrayRefIlEEKT_Lm4ENS4_16DefaultPtrTraitsEiEENS_6detail16IndexBoundsCheckILm5EiEESC_Lm5ESD_iEENS6_INS7_ISA_SB_Lm4ESD_iEESH_SB_Lm5ESD_iEESI_PSC_iiiiiiiii.has_recursion, 0
	.set _ZN2at6native12_GLOBAL__N_128conv_depthwise3d_cuda_kernelIffLin1ELin1ELin1ELin1ELin1ELin1EEEvN5torch10headeronly6detail27GenericPackedTensorAccessorINS5_14TensorAccessorIN3c108ArrayRefIlEEKT_Lm4ENS4_16DefaultPtrTraitsEiEENS_6detail16IndexBoundsCheckILm5EiEESC_Lm5ESD_iEENS6_INS7_ISA_SB_Lm4ESD_iEESH_SB_Lm5ESD_iEESI_PSC_iiiiiiiii.has_indirect_call, 0
	.section	.AMDGPU.csdata,"",@progbits
; Kernel info:
; codeLenInByte = 2008
; TotalNumSgprs: 84
; NumVgprs: 24
; ScratchSize: 0
; MemoryBound: 0
; FloatMode: 240
; IeeeMode: 1
; LDSByteSize: 0 bytes/workgroup (compile time only)
; SGPRBlocks: 0
; VGPRBlocks: 1
; NumSGPRsForWavesPerEU: 84
; NumVGPRsForWavesPerEU: 24
; NamedBarCnt: 0
; Occupancy: 16
; WaveLimiterHint : 0
; COMPUTE_PGM_RSRC2:SCRATCH_EN: 0
; COMPUTE_PGM_RSRC2:USER_SGPR: 2
; COMPUTE_PGM_RSRC2:TRAP_HANDLER: 0
; COMPUTE_PGM_RSRC2:TGID_X_EN: 1
; COMPUTE_PGM_RSRC2:TGID_Y_EN: 0
; COMPUTE_PGM_RSRC2:TGID_Z_EN: 0
; COMPUTE_PGM_RSRC2:TIDIG_COMP_CNT: 0
	.section	.text._ZN2at6native12_GLOBAL__N_128conv_depthwise3d_cuda_kernelIN3c104HalfEfLi3ELi3ELi3ELi1ELi1ELi1EEEvN5torch10headeronly6detail27GenericPackedTensorAccessorINS7_14TensorAccessorINS3_8ArrayRefIlEEKT_Lm4ENS6_16DefaultPtrTraitsEiEENS_6detail16IndexBoundsCheckILm5EiEESD_Lm5ESE_iEENS8_INS9_ISB_SC_Lm4ESE_iEESI_SC_Lm5ESE_iEESJ_PSD_iiiiiiiii,"axG",@progbits,_ZN2at6native12_GLOBAL__N_128conv_depthwise3d_cuda_kernelIN3c104HalfEfLi3ELi3ELi3ELi1ELi1ELi1EEEvN5torch10headeronly6detail27GenericPackedTensorAccessorINS7_14TensorAccessorINS3_8ArrayRefIlEEKT_Lm4ENS6_16DefaultPtrTraitsEiEENS_6detail16IndexBoundsCheckILm5EiEESD_Lm5ESE_iEENS8_INS9_ISB_SC_Lm4ESE_iEESI_SC_Lm5ESE_iEESJ_PSD_iiiiiiiii,comdat
	.globl	_ZN2at6native12_GLOBAL__N_128conv_depthwise3d_cuda_kernelIN3c104HalfEfLi3ELi3ELi3ELi1ELi1ELi1EEEvN5torch10headeronly6detail27GenericPackedTensorAccessorINS7_14TensorAccessorINS3_8ArrayRefIlEEKT_Lm4ENS6_16DefaultPtrTraitsEiEENS_6detail16IndexBoundsCheckILm5EiEESD_Lm5ESE_iEENS8_INS9_ISB_SC_Lm4ESE_iEESI_SC_Lm5ESE_iEESJ_PSD_iiiiiiiii ; -- Begin function _ZN2at6native12_GLOBAL__N_128conv_depthwise3d_cuda_kernelIN3c104HalfEfLi3ELi3ELi3ELi1ELi1ELi1EEEvN5torch10headeronly6detail27GenericPackedTensorAccessorINS7_14TensorAccessorINS3_8ArrayRefIlEEKT_Lm4ENS6_16DefaultPtrTraitsEiEENS_6detail16IndexBoundsCheckILm5EiEESD_Lm5ESE_iEENS8_INS9_ISB_SC_Lm4ESE_iEESI_SC_Lm5ESE_iEESJ_PSD_iiiiiiiii
	.p2align	8
	.type	_ZN2at6native12_GLOBAL__N_128conv_depthwise3d_cuda_kernelIN3c104HalfEfLi3ELi3ELi3ELi1ELi1ELi1EEEvN5torch10headeronly6detail27GenericPackedTensorAccessorINS7_14TensorAccessorINS3_8ArrayRefIlEEKT_Lm4ENS6_16DefaultPtrTraitsEiEENS_6detail16IndexBoundsCheckILm5EiEESD_Lm5ESE_iEENS8_INS9_ISB_SC_Lm4ESE_iEESI_SC_Lm5ESE_iEESJ_PSD_iiiiiiiii,@function
_ZN2at6native12_GLOBAL__N_128conv_depthwise3d_cuda_kernelIN3c104HalfEfLi3ELi3ELi3ELi1ELi1ELi1EEEvN5torch10headeronly6detail27GenericPackedTensorAccessorINS7_14TensorAccessorINS3_8ArrayRefIlEEKT_Lm4ENS6_16DefaultPtrTraitsEiEENS_6detail16IndexBoundsCheckILm5EiEESD_Lm5ESE_iEENS8_INS9_ISB_SC_Lm4ESE_iEESI_SC_Lm5ESE_iEESJ_PSD_iiiiiiiii: ; @_ZN2at6native12_GLOBAL__N_128conv_depthwise3d_cuda_kernelIN3c104HalfEfLi3ELi3ELi3ELi1ELi1ELi1EEEvN5torch10headeronly6detail27GenericPackedTensorAccessorINS7_14TensorAccessorINS3_8ArrayRefIlEEKT_Lm4ENS6_16DefaultPtrTraitsEiEENS_6detail16IndexBoundsCheckILm5EiEESD_Lm5ESE_iEENS8_INS9_ISB_SC_Lm4ESE_iEESI_SC_Lm5ESE_iEESJ_PSD_iiiiiiiii
; %bb.0:
	s_clause 0x3
	s_load_b128 s[12:15], s[0:1], 0xc
	s_load_b32 s4, s[0:1], 0xcc
	s_load_b64 s[34:35], s[0:1], 0x48
	s_load_b128 s[16:19], s[0:1], 0x38
	s_bfe_u32 s2, ttmp6, 0x4000c
	s_and_b32 s3, ttmp6, 15
	s_add_co_i32 s2, s2, 1
	s_getreg_b32 s5, hwreg(HW_REG_IB_STS2, 6, 4)
	s_mul_i32 s2, ttmp9, s2
	s_mov_b32 s37, 0
	s_add_co_i32 s2, s3, s2
	v_mov_b32_e32 v1, 0
	s_mov_b32 s3, s37
	s_wait_kmcnt 0x0
	s_abs_i32 s6, s12
	s_cmp_eq_u32 s5, 0
	s_cvt_f32_u32 s7, s6
	s_cselect_b32 s2, ttmp9, s2
	s_and_b32 s4, s4, 0xffff
	s_mov_b32 s5, s37
	v_rcp_iflag_f32_e32 v4, s7
	s_mul_u64 s[38:39], s[4:5], s[2:3]
	s_mul_i32 s40, s35, s16
	v_add_nc_u64_e32 v[2:3], s[38:39], v[0:1]
	s_ashr_i32 s41, s40, 31
	s_mov_b32 s5, exec_lo
	s_delay_alu instid0(TRANS32_DEP_1) | instskip(NEXT) | instid1(VALU_DEP_2)
	v_readfirstlane_b32 s3, v4
	v_cmpx_gt_i64_e64 s[40:41], v[2:3]
	s_cbranch_execz .LBB6_59
; %bb.1:
	s_mul_f32 s3, s3, 0x4f7ffffe
	s_sub_co_i32 s5, 0, s6
	s_abs_i32 s42, s17
	s_mov_b32 s43, s37
	s_cvt_u32_f32 s3, s3
	s_clause 0x1
	s_load_b64 s[44:45], s[0:1], 0x90
	s_load_b32 s33, s[0:1], 0x7c
	s_ashr_i32 s16, s17, 31
	s_mul_i32 s5, s5, s3
	s_add_nc_u64 s[10:11], s[0:1], 0xc0
	s_mul_hi_u32 s5, s3, s5
	s_mov_b32 s46, s15
	s_add_co_i32 s36, s3, s5
	s_ashr_i32 s3, s12, 31
	s_mul_u64 s[8:9], s[42:43], s[36:37]
	s_xor_b32 s3, s16, s3
	s_mul_i32 s5, s9, s6
	s_add_co_i32 s7, s9, 1
	s_sub_co_i32 s5, s42, s5
	s_mov_b32 s59, s37
	s_sub_co_i32 s8, s5, s6
	s_cmp_ge_u32 s5, s6
	s_mov_b32 s61, s37
	s_cselect_b32 s7, s7, s9
	s_cselect_b32 s5, s8, s5
	s_add_co_i32 s8, s7, 1
	s_cmp_ge_u32 s5, s6
	s_mov_b32 s63, s37
	s_cselect_b32 s5, s8, s7
	s_add_co_i32 s6, s14, -3
	s_xor_b32 s5, s5, s3
	s_mul_i32 s48, s15, s6
	s_ashr_i32 s47, s15, 31
	s_sub_co_i32 s3, s5, s3
	s_ashr_i32 s49, s48, 31
	s_wait_kmcnt 0x0
	s_cmp_lg_u64 s[44:45], 0
	s_load_b32 s5, s[10:11], 0x0
	s_cselect_b32 s43, -1, 0
	s_abs_i32 s68, s34
	s_abs_i32 s69, s19
	s_cvt_f32_u32 s6, s68
	s_abs_i32 s71, s18
	s_clause 0x3
	s_load_b128 s[20:23], s[0:1], 0x98
	s_load_b64 s[50:51], s[0:1], 0xa8
	s_load_b64 s[52:53], s[0:1], 0x0
	s_load_b128 s[24:27], s[0:1], 0x1c
	v_rcp_iflag_f32_e32 v2, s6
	s_cvt_f32_u32 s6, s69
	s_clause 0x3
	s_load_b32 s70, s[0:1], 0x2c
	s_load_b64 s[54:55], s[0:1], 0x30
	s_load_b64 s[56:57], s[0:1], 0x60
	s_load_b128 s[28:31], s[0:1], 0x50
	s_sub_co_i32 s7, 0, s68
	v_rcp_iflag_f32_e32 v3, s6
	s_wait_xcnt 0x0
	s_cvt_f32_u32 s0, s42
	v_nop
	v_readfirstlane_b32 s6, v2
	s_abs_i32 s73, s3
	s_ashr_i32 s72, s34, 31
	s_ashr_i32 s74, s19, 31
	;; [unrolled: 1-line block ×3, first 2 shown]
	s_mul_f32 s1, s6, 0x4f7ffffe
	s_wait_kmcnt 0x0
	s_mul_i32 s36, s5, s4
	s_cvt_f32_u32 s5, s71
	v_readfirstlane_b32 s6, v3
	s_cvt_u32_f32 s1, s1
	s_mov_b32 s65, s37
	v_rcp_iflag_f32_e32 v2, s5
	s_ashr_i32 s76, s3, 31
	s_mul_i32 s7, s7, s1
	s_mul_f32 s5, s6, 0x4f7ffffe
	s_mul_hi_u32 s7, s1, s7
	s_sub_co_i32 s6, 0, s69
	s_add_co_i32 s58, s1, s7
	v_nop
	v_readfirstlane_b32 s1, v2
	v_rcp_iflag_f32_e32 v2, s0
	s_cvt_u32_f32 s5, s5
	s_mov_b32 s67, s37
	s_mul_i32 s77, s2, s4
	s_mul_f32 s0, s1, 0x4f7ffffe
	s_cvt_f32_u32 s1, s73
	s_mul_i32 s6, s6, s5
	s_mov_b32 s78, s37
	s_mul_hi_u32 s6, s5, s6
	v_rcp_iflag_f32_e32 v3, s1
	v_nop
	v_readfirstlane_b32 s1, v2
	s_cvt_u32_f32 s0, s0
	s_add_co_i32 s60, s5, s6
	s_sub_co_i32 s5, 0, s71
	s_delay_alu instid0(SALU_CYCLE_1)
	s_mul_i32 s5, s5, s0
	v_readfirstlane_b32 s6, v3
	s_mul_f32 s1, s1, 0x4f7ffffe
	s_mul_hi_u32 s5, s0, s5
	v_mov_b64_e32 v[2:3], v[0:1]
	s_add_co_i32 s62, s0, s5
	s_cvt_u32_f32 s0, s1
	s_mul_f32 s1, s6, 0x4f7ffffe
	s_sub_co_i32 s5, 0, s42
	s_sub_co_i32 s6, 0, s73
	s_mul_i32 s5, s5, s0
	s_cvt_u32_f32 s1, s1
	s_mul_hi_u32 s5, s0, s5
	s_delay_alu instid0(SALU_CYCLE_1) | instskip(NEXT) | instid1(SALU_CYCLE_1)
	s_add_co_i32 s64, s0, s5
	s_mul_i32 s6, s6, s1
	s_delay_alu instid0(SALU_CYCLE_1) | instskip(NEXT) | instid1(SALU_CYCLE_1)
	s_mul_hi_u32 s0, s1, s6
	s_add_co_i32 s66, s1, s0
	s_branch .LBB6_3
.LBB6_2:                                ;   in Loop: Header=BB6_3 Depth=1
	v_mul_lo_u32 v4, v9, s35
	v_mul_lo_u32 v6, s28, v8
	s_wait_xcnt 0x0
	v_mul_lo_u32 v8, s29, v11
	v_mul_lo_u32 v10, s30, v10
	v_add_nc_u64_e32 v[2:3], s[36:37], v[2:3]
	v_mul_lo_u32 v14, s31, v0
	v_cvt_f16_f32_e32 v0, v12
	v_dual_ashrrev_i32 v5, 31, v4 :: v_dual_ashrrev_i32 v7, 31, v6
	v_dual_ashrrev_i32 v9, 31, v8 :: v_dual_ashrrev_i32 v11, 31, v10
	s_delay_alu instid0(VALU_DEP_4) | instskip(NEXT) | instid1(VALU_DEP_3)
	v_ashrrev_i32_e32 v15, 31, v14
	v_lshl_add_u64 v[4:5], v[4:5], 1, s[54:55]
	s_delay_alu instid0(VALU_DEP_1) | instskip(SKIP_1) | instid1(VALU_DEP_2)
	v_lshl_add_u64 v[4:5], v[6:7], 1, v[4:5]
	v_add_nc_u64_e32 v[6:7], s[38:39], v[2:3]
	v_lshl_add_u64 v[4:5], v[8:9], 1, v[4:5]
	s_delay_alu instid0(VALU_DEP_2) | instskip(NEXT) | instid1(VALU_DEP_2)
	v_cmp_le_i64_e32 vcc_lo, s[40:41], v[6:7]
	v_lshl_add_u64 v[4:5], v[10:11], 1, v[4:5]
	s_or_b32 s78, vcc_lo, s78
	s_delay_alu instid0(VALU_DEP_1)
	v_lshl_add_u64 v[4:5], v[14:15], 1, v[4:5]
	global_store_b16 v[4:5], v0, off
	s_wait_xcnt 0x0
	s_and_not1_b32 exec_lo, exec_lo, s78
	s_cbranch_execz .LBB6_59
.LBB6_3:                                ; =>This Inner Loop Header: Depth=1
	v_add_nc_u32_e32 v6, s77, v2
	s_delay_alu instid0(VALU_DEP_1) | instskip(NEXT) | instid1(VALU_DEP_1)
	v_sub_nc_u32_e32 v0, 0, v6
	v_max_i32_e32 v0, v6, v0
	s_delay_alu instid0(VALU_DEP_1) | instskip(NEXT) | instid1(VALU_DEP_1)
	v_mul_u64_e32 v[4:5], s[58:59], v[0:1]
	v_mul_lo_u32 v4, v5, s68
	s_delay_alu instid0(VALU_DEP_1) | instskip(NEXT) | instid1(VALU_DEP_1)
	v_dual_sub_nc_u32 v0, v0, v4 :: v_dual_add_nc_u32 v4, 1, v5
	v_subrev_nc_u32_e32 v7, s68, v0
	v_cmp_le_u32_e32 vcc_lo, s68, v0
	s_delay_alu instid0(VALU_DEP_2) | instskip(NEXT) | instid1(VALU_DEP_1)
	v_dual_cndmask_b32 v4, v5, v4, vcc_lo :: v_dual_cndmask_b32 v0, v0, v7, vcc_lo
	v_dual_ashrrev_i32 v5, 31, v6 :: v_dual_add_nc_u32 v7, 1, v4
	s_delay_alu instid0(VALU_DEP_2) | instskip(NEXT) | instid1(VALU_DEP_2)
	v_cmp_le_u32_e32 vcc_lo, s68, v0
	v_dual_cndmask_b32 v0, v4, v7, vcc_lo :: v_dual_bitop2_b32 v5, s72, v5 bitop3:0x14
	s_delay_alu instid0(VALU_DEP_1) | instskip(NEXT) | instid1(VALU_DEP_1)
	v_xor_b32_e32 v0, v0, v5
	v_sub_nc_u32_e32 v7, v0, v5
	s_delay_alu instid0(VALU_DEP_1) | instskip(NEXT) | instid1(VALU_DEP_1)
	v_sub_nc_u32_e32 v0, 0, v7
	v_max_i32_e32 v0, v7, v0
	s_delay_alu instid0(VALU_DEP_1) | instskip(NEXT) | instid1(VALU_DEP_1)
	v_mul_u64_e32 v[4:5], s[60:61], v[0:1]
	v_mul_lo_u32 v4, v5, s69
	s_delay_alu instid0(VALU_DEP_1) | instskip(NEXT) | instid1(VALU_DEP_1)
	v_dual_sub_nc_u32 v0, v0, v4 :: v_dual_add_nc_u32 v4, 1, v5
	v_subrev_nc_u32_e32 v8, s69, v0
	v_cmp_le_u32_e32 vcc_lo, s69, v0
	s_delay_alu instid0(VALU_DEP_3) | instskip(NEXT) | instid1(VALU_DEP_1)
	v_dual_cndmask_b32 v4, v5, v4 :: v_dual_ashrrev_i32 v5, 31, v7
	v_dual_cndmask_b32 v0, v0, v8, vcc_lo :: v_dual_bitop2_b32 v5, s74, v5 bitop3:0x14
	s_delay_alu instid0(VALU_DEP_2) | instskip(NEXT) | instid1(VALU_DEP_2)
	v_add_nc_u32_e32 v8, 1, v4
	v_cmp_le_u32_e32 vcc_lo, s69, v0
	s_delay_alu instid0(VALU_DEP_2) | instskip(NEXT) | instid1(VALU_DEP_1)
	v_cndmask_b32_e32 v0, v4, v8, vcc_lo
	v_xor_b32_e32 v0, v0, v5
	s_delay_alu instid0(VALU_DEP_1) | instskip(NEXT) | instid1(VALU_DEP_1)
	v_sub_nc_u32_e32 v10, v0, v5
	v_sub_nc_u32_e32 v0, 0, v10
	s_delay_alu instid0(VALU_DEP_1) | instskip(NEXT) | instid1(VALU_DEP_1)
	v_max_i32_e32 v0, v10, v0
	v_mul_u64_e32 v[4:5], s[62:63], v[0:1]
	s_delay_alu instid0(VALU_DEP_1) | instskip(NEXT) | instid1(VALU_DEP_1)
	v_mul_lo_u32 v4, v5, s71
	v_dual_sub_nc_u32 v0, v0, v4 :: v_dual_add_nc_u32 v4, 1, v5
	s_delay_alu instid0(VALU_DEP_1) | instskip(SKIP_1) | instid1(VALU_DEP_3)
	v_subrev_nc_u32_e32 v8, s71, v0
	v_cmp_le_u32_e32 vcc_lo, s71, v0
	v_dual_cndmask_b32 v4, v5, v4 :: v_dual_ashrrev_i32 v5, 31, v10
	s_delay_alu instid0(VALU_DEP_1) | instskip(NEXT) | instid1(VALU_DEP_2)
	v_dual_cndmask_b32 v0, v0, v8, vcc_lo :: v_dual_bitop2_b32 v5, s75, v5 bitop3:0x14
	v_add_nc_u32_e32 v8, 1, v4
	s_delay_alu instid0(VALU_DEP_2) | instskip(NEXT) | instid1(VALU_DEP_2)
	v_cmp_le_u32_e32 vcc_lo, s71, v0
	v_cndmask_b32_e32 v0, v4, v8, vcc_lo
	s_delay_alu instid0(VALU_DEP_1) | instskip(NEXT) | instid1(VALU_DEP_1)
	v_xor_b32_e32 v0, v0, v5
	v_sub_nc_u32_e32 v11, v0, v5
	s_delay_alu instid0(VALU_DEP_1) | instskip(NEXT) | instid1(VALU_DEP_1)
	v_sub_nc_u32_e32 v0, 0, v11
	v_max_i32_e32 v0, v11, v0
	s_delay_alu instid0(VALU_DEP_1) | instskip(NEXT) | instid1(VALU_DEP_1)
	v_mul_u64_e32 v[4:5], s[64:65], v[0:1]
	v_mul_lo_u32 v4, v5, s42
	s_delay_alu instid0(VALU_DEP_1) | instskip(NEXT) | instid1(VALU_DEP_1)
	v_dual_sub_nc_u32 v0, v0, v4 :: v_dual_add_nc_u32 v4, 1, v5
	v_subrev_nc_u32_e32 v8, s42, v0
	v_cmp_le_u32_e32 vcc_lo, s42, v0
	s_delay_alu instid0(VALU_DEP_3) | instskip(NEXT) | instid1(VALU_DEP_1)
	v_dual_cndmask_b32 v4, v5, v4 :: v_dual_ashrrev_i32 v5, 31, v11
	v_dual_cndmask_b32 v0, v0, v8, vcc_lo :: v_dual_bitop2_b32 v5, s16, v5 bitop3:0x14
	s_delay_alu instid0(VALU_DEP_2) | instskip(NEXT) | instid1(VALU_DEP_2)
	v_add_nc_u32_e32 v8, 1, v4
	v_cmp_le_u32_e32 vcc_lo, s42, v0
	s_delay_alu instid0(VALU_DEP_2) | instskip(NEXT) | instid1(VALU_DEP_1)
	v_cndmask_b32_e32 v0, v4, v8, vcc_lo
	v_xor_b32_e32 v0, v0, v5
	s_delay_alu instid0(VALU_DEP_1) | instskip(NEXT) | instid1(VALU_DEP_1)
	v_sub_nc_u32_e32 v9, v0, v5
	v_mul_lo_u32 v0, v9, s17
	s_delay_alu instid0(VALU_DEP_1) | instskip(SKIP_1) | instid1(VALU_DEP_2)
	v_sub_nc_u32_e32 v8, v11, v0
	v_mul_lo_u32 v11, v11, s18
	v_dual_sub_nc_u32 v0, 0, v8 :: v_dual_ashrrev_i32 v14, 31, v8
	v_mul_lo_u32 v22, s33, v8
	s_delay_alu instid0(VALU_DEP_2) | instskip(NEXT) | instid1(VALU_DEP_1)
	v_dual_sub_nc_u32 v11, v10, v11 :: v_dual_max_i32 v0, v8, v0
	v_mul_u64_e32 v[4:5], s[66:67], v[0:1]
	s_delay_alu instid0(VALU_DEP_3) | instskip(NEXT) | instid1(VALU_DEP_2)
	v_ashrrev_i32_e32 v23, 31, v22
	v_mul_lo_u32 v4, v5, s73
	s_delay_alu instid0(VALU_DEP_1) | instskip(SKIP_1) | instid1(VALU_DEP_2)
	v_dual_add_nc_u32 v12, 1, v5 :: v_dual_sub_nc_u32 v0, v0, v4
	v_mul_lo_u32 v4, v7, s34
	v_subrev_nc_u32_e32 v13, s73, v0
	v_cmp_le_u32_e32 vcc_lo, s73, v0
	s_delay_alu instid0(VALU_DEP_2) | instskip(SKIP_1) | instid1(VALU_DEP_2)
	v_dual_cndmask_b32 v5, v5, v12, vcc_lo :: v_dual_cndmask_b32 v13, v0, v13, vcc_lo
	v_mul_lo_u32 v12, v10, s19
	v_add_nc_u32_e32 v15, 1, v5
	s_delay_alu instid0(VALU_DEP_3) | instskip(SKIP_1) | instid1(VALU_DEP_3)
	v_cmp_le_u32_e32 vcc_lo, s73, v13
	v_dual_sub_nc_u32 v0, v6, v4 :: v_dual_bitop2_b32 v6, s76, v14 bitop3:0x14
	v_cndmask_b32_e32 v4, v5, v15, vcc_lo
	v_mul_lo_u32 v5, v11, s20
	v_sub_nc_u32_e32 v10, v7, v12
	s_delay_alu instid0(VALU_DEP_4) | instskip(NEXT) | instid1(VALU_DEP_4)
	v_mul_lo_u32 v7, v0, s22
	v_xor_b32_e32 v12, v4, v6
	v_mul_lo_u32 v4, s24, v9
	s_delay_alu instid0(VALU_DEP_4) | instskip(NEXT) | instid1(VALU_DEP_3)
	v_mul_lo_u32 v14, v10, s21
	v_sub_nc_u32_e32 v6, v12, v6
	v_subrev_nc_u32_e32 v13, s23, v5
	v_subrev_nc_u32_e32 v15, s51, v7
	v_ashrrev_i32_e32 v5, 31, v4
	s_delay_alu instid0(VALU_DEP_4)
	v_mul_lo_u32 v6, s25, v6
	v_subrev_nc_u32_e32 v14, s50, v14
	v_mul_lo_u32 v16, s26, v13
	v_mul_lo_u32 v18, s70, v15
	v_lshl_add_u64 v[4:5], v[4:5], 1, s[52:53]
	v_cmp_gt_i32_e64 s11, s13, v13
	v_mul_lo_u32 v20, s27, v14
	v_or_b32_e32 v12, v13, v14
	v_cmp_gt_i32_e64 s5, s14, v14
	v_cmp_gt_i32_e64 s0, s15, v15
	v_cmp_lt_i32_e64 s8, -1, v14
	v_ashrrev_i32_e32 v7, 31, v6
	v_cmp_lt_i32_e64 s7, -1, v13
	v_ashrrev_i32_e32 v17, 31, v16
	v_cmp_lt_i32_e32 vcc_lo, -1, v15
	s_delay_alu instid0(VALU_DEP_4) | instskip(SKIP_3) | instid1(VALU_DEP_4)
	v_lshl_add_u64 v[4:5], v[6:7], 1, v[4:5]
	v_dual_ashrrev_i32 v21, 31, v20 :: v_dual_ashrrev_i32 v19, 31, v18
	v_or_b32_e32 v6, v12, v15
	v_cmp_lt_i32_e64 s4, -1, v12
	v_lshl_add_u64 v[4:5], v[16:17], 1, v[4:5]
	v_mov_b32_e32 v12, 0
	s_delay_alu instid0(VALU_DEP_4) | instskip(NEXT) | instid1(VALU_DEP_3)
	v_cmp_lt_i32_e64 s1, -1, v6
	v_lshl_add_u64 v[6:7], v[20:21], 1, v[4:5]
	v_lshl_add_u64 v[4:5], v[22:23], 1, s[56:57]
	s_and_b32 s1, s1, s11
	s_delay_alu instid0(VALU_DEP_2) | instskip(SKIP_1) | instid1(SALU_CYCLE_1)
	v_lshl_add_u64 v[6:7], v[18:19], 1, v[6:7]
	s_and_b32 s1, s1, s5
	s_and_b32 s2, s1, s0
	s_delay_alu instid0(SALU_CYCLE_1)
	s_and_saveexec_b32 s1, s2
	s_cbranch_execz .LBB6_5
; %bb.4:                                ;   in Loop: Header=BB6_3 Depth=1
	global_load_u16 v12, v[4:5], off
	global_load_u16 v16, v[6:7], off
	s_wait_loadcnt 0x0
	v_fma_mix_f32 v12, v12, v16, 0 op_sel_hi:[1,1,0]
.LBB6_5:                                ;   in Loop: Header=BB6_3 Depth=1
	s_wait_xcnt 0x0
	s_or_b32 exec_lo, exec_lo, s1
	v_cmp_lt_i32_e64 s1, -2, v15
	v_add_nc_u32_e32 v16, 1, v15
	s_and_b32 s3, s4, s1
	s_delay_alu instid0(VALU_DEP_1) | instskip(SKIP_1) | instid1(SALU_CYCLE_1)
	v_cmp_gt_i32_e64 s2, s15, v16
	s_and_b32 s3, s3, s11
	s_and_b32 s3, s3, s5
	s_delay_alu instid0(SALU_CYCLE_1) | instskip(NEXT) | instid1(SALU_CYCLE_1)
	s_and_b32 s6, s3, s2
	s_and_saveexec_b32 s3, s6
	s_cbranch_execz .LBB6_7
; %bb.6:                                ;   in Loop: Header=BB6_3 Depth=1
	global_load_u16 v16, v[4:5], off offset:2
	global_load_u16 v17, v[6:7], off offset:2
	s_wait_loadcnt 0x0
	v_fma_mix_f32 v12, v16, v17, v12 op_sel_hi:[1,1,0]
.LBB6_7:                                ;   in Loop: Header=BB6_3 Depth=1
	s_wait_xcnt 0x0
	s_or_b32 exec_lo, exec_lo, s3
	v_cmp_lt_i32_e64 s3, -3, v15
	v_add_nc_u32_e32 v15, 2, v15
	s_and_b32 s6, s4, s3
	s_delay_alu instid0(VALU_DEP_1) | instskip(SKIP_1) | instid1(SALU_CYCLE_1)
	v_cmp_gt_i32_e64 s4, s15, v15
	s_and_b32 s6, s6, s11
	s_and_b32 s6, s6, s5
	s_delay_alu instid0(SALU_CYCLE_1) | instskip(NEXT) | instid1(SALU_CYCLE_1)
	s_and_b32 s9, s6, s4
	s_and_saveexec_b32 s6, s9
	s_cbranch_execz .LBB6_9
; %bb.8:                                ;   in Loop: Header=BB6_3 Depth=1
	global_load_u16 v15, v[4:5], off offset:4
	global_load_u16 v16, v[6:7], off offset:4
	s_wait_loadcnt 0x0
	v_fma_mix_f32 v12, v15, v16, v12 op_sel_hi:[1,1,0]
.LBB6_9:                                ;   in Loop: Header=BB6_3 Depth=1
	s_wait_xcnt 0x0
	s_or_b32 exec_lo, exec_lo, s6
	v_cmp_lt_i32_e64 s9, -2, v14
	v_add_nc_u32_e32 v15, 1, v14
	v_lshl_add_u64 v[6:7], s[46:47], 1, v[6:7]
	s_and_b32 s10, s7, s9
	s_delay_alu instid0(VALU_DEP_2) | instskip(SKIP_1) | instid1(SALU_CYCLE_1)
	v_cmp_gt_i32_e64 s6, s14, v15
	s_and_b32 s12, s10, vcc_lo
	s_and_b32 s12, s12, s11
	s_delay_alu instid0(SALU_CYCLE_1) | instskip(NEXT) | instid1(SALU_CYCLE_1)
	s_and_b32 s12, s12, s6
	s_and_b32 s79, s12, s0
	s_delay_alu instid0(SALU_CYCLE_1)
	s_and_saveexec_b32 s12, s79
	s_cbranch_execz .LBB6_11
; %bb.10:                               ;   in Loop: Header=BB6_3 Depth=1
	global_load_u16 v15, v[4:5], off offset:6
	global_load_u16 v16, v[6:7], off
	s_wait_loadcnt 0x0
	v_fma_mix_f32 v12, v15, v16, v12 op_sel_hi:[1,1,0]
.LBB6_11:                               ;   in Loop: Header=BB6_3 Depth=1
	s_wait_xcnt 0x0
	s_or_b32 exec_lo, exec_lo, s12
	s_and_b32 s12, s10, s1
	s_delay_alu instid0(SALU_CYCLE_1) | instskip(NEXT) | instid1(SALU_CYCLE_1)
	s_and_b32 s12, s12, s11
	s_and_b32 s12, s12, s6
	s_delay_alu instid0(SALU_CYCLE_1) | instskip(NEXT) | instid1(SALU_CYCLE_1)
	s_and_b32 s79, s12, s2
	s_and_saveexec_b32 s12, s79
	s_cbranch_execz .LBB6_13
; %bb.12:                               ;   in Loop: Header=BB6_3 Depth=1
	global_load_u16 v15, v[4:5], off offset:8
	global_load_u16 v16, v[6:7], off offset:2
	s_wait_loadcnt 0x0
	v_fma_mix_f32 v12, v15, v16, v12 op_sel_hi:[1,1,0]
.LBB6_13:                               ;   in Loop: Header=BB6_3 Depth=1
	s_wait_xcnt 0x0
	s_or_b32 exec_lo, exec_lo, s12
	s_and_b32 s10, s10, s3
	s_delay_alu instid0(SALU_CYCLE_1) | instskip(NEXT) | instid1(SALU_CYCLE_1)
	s_and_b32 s10, s10, s11
	s_and_b32 s10, s10, s6
	s_delay_alu instid0(SALU_CYCLE_1) | instskip(NEXT) | instid1(SALU_CYCLE_1)
	s_and_b32 s12, s10, s4
	s_and_saveexec_b32 s10, s12
	s_cbranch_execz .LBB6_15
; %bb.14:                               ;   in Loop: Header=BB6_3 Depth=1
	global_load_u16 v15, v[4:5], off offset:10
	global_load_u16 v16, v[6:7], off offset:4
	s_wait_loadcnt 0x0
	v_fma_mix_f32 v12, v15, v16, v12 op_sel_hi:[1,1,0]
.LBB6_15:                               ;   in Loop: Header=BB6_3 Depth=1
	s_wait_xcnt 0x0
	s_or_b32 exec_lo, exec_lo, s10
	v_cmp_lt_i32_e64 s10, -3, v14
	v_add_nc_u32_e32 v14, 2, v14
	v_lshl_add_u64 v[6:7], s[46:47], 1, v[6:7]
	s_and_b32 s12, s7, s10
	s_delay_alu instid0(VALU_DEP_2) | instskip(SKIP_1) | instid1(SALU_CYCLE_1)
	v_cmp_gt_i32_e64 s7, s14, v14
	s_and_b32 s79, s12, vcc_lo
	s_and_b32 s79, s79, s11
	s_delay_alu instid0(SALU_CYCLE_1) | instskip(NEXT) | instid1(SALU_CYCLE_1)
	s_and_b32 s79, s79, s7
	s_and_b32 s80, s79, s0
	s_delay_alu instid0(SALU_CYCLE_1)
	s_and_saveexec_b32 s79, s80
	s_cbranch_execz .LBB6_17
; %bb.16:                               ;   in Loop: Header=BB6_3 Depth=1
	global_load_u16 v14, v[4:5], off offset:12
	global_load_u16 v15, v[6:7], off
	s_wait_loadcnt 0x0
	v_fma_mix_f32 v12, v14, v15, v12 op_sel_hi:[1,1,0]
.LBB6_17:                               ;   in Loop: Header=BB6_3 Depth=1
	s_wait_xcnt 0x0
	s_or_b32 exec_lo, exec_lo, s79
	s_and_b32 s79, s12, s1
	s_delay_alu instid0(SALU_CYCLE_1) | instskip(NEXT) | instid1(SALU_CYCLE_1)
	s_and_b32 s79, s79, s11
	s_and_b32 s79, s79, s7
	s_delay_alu instid0(SALU_CYCLE_1) | instskip(NEXT) | instid1(SALU_CYCLE_1)
	s_and_b32 s80, s79, s2
	s_and_saveexec_b32 s79, s80
	s_cbranch_execz .LBB6_19
; %bb.18:                               ;   in Loop: Header=BB6_3 Depth=1
	global_load_u16 v14, v[4:5], off offset:14
	global_load_u16 v15, v[6:7], off offset:2
	s_wait_loadcnt 0x0
	v_fma_mix_f32 v12, v14, v15, v12 op_sel_hi:[1,1,0]
.LBB6_19:                               ;   in Loop: Header=BB6_3 Depth=1
	s_wait_xcnt 0x0
	s_or_b32 exec_lo, exec_lo, s79
	s_and_b32 s12, s12, s3
	s_delay_alu instid0(SALU_CYCLE_1) | instskip(NEXT) | instid1(SALU_CYCLE_1)
	s_and_b32 s11, s12, s11
	s_and_b32 s11, s11, s7
	s_delay_alu instid0(SALU_CYCLE_1) | instskip(NEXT) | instid1(SALU_CYCLE_1)
	s_and_b32 s12, s11, s4
	s_and_saveexec_b32 s11, s12
	s_cbranch_execz .LBB6_21
; %bb.20:                               ;   in Loop: Header=BB6_3 Depth=1
	global_load_u16 v14, v[4:5], off offset:16
	global_load_u16 v15, v[6:7], off offset:4
	s_wait_loadcnt 0x0
	v_fma_mix_f32 v12, v14, v15, v12 op_sel_hi:[1,1,0]
.LBB6_21:                               ;   in Loop: Header=BB6_3 Depth=1
	s_wait_xcnt 0x0
	s_or_b32 exec_lo, exec_lo, s11
	v_add_nc_u32_e32 v14, 1, v13
	v_cmp_lt_i32_e64 s12, -2, v13
	v_lshl_add_u64 v[6:7], s[46:47], 1, v[6:7]
	s_delay_alu instid0(VALU_DEP_3) | instskip(SKIP_3) | instid1(SALU_CYCLE_1)
	v_cmp_gt_i32_e64 s11, s13, v14
	s_and_b32 s79, s12, s8
	v_lshl_add_u64 v[6:7], s[48:49], 1, v[6:7]
	s_and_b32 s80, s79, vcc_lo
	s_and_b32 s80, s80, s11
	s_delay_alu instid0(SALU_CYCLE_1) | instskip(NEXT) | instid1(SALU_CYCLE_1)
	s_and_b32 s80, s80, s5
	s_and_b32 s81, s80, s0
	s_delay_alu instid0(SALU_CYCLE_1)
	s_and_saveexec_b32 s80, s81
	s_cbranch_execz .LBB6_23
; %bb.22:                               ;   in Loop: Header=BB6_3 Depth=1
	global_load_u16 v14, v[4:5], off offset:18
	global_load_u16 v15, v[6:7], off
	s_wait_loadcnt 0x0
	v_fma_mix_f32 v12, v14, v15, v12 op_sel_hi:[1,1,0]
.LBB6_23:                               ;   in Loop: Header=BB6_3 Depth=1
	s_wait_xcnt 0x0
	s_or_b32 exec_lo, exec_lo, s80
	s_and_b32 s80, s79, s1
	s_delay_alu instid0(SALU_CYCLE_1) | instskip(NEXT) | instid1(SALU_CYCLE_1)
	s_and_b32 s80, s80, s11
	s_and_b32 s80, s80, s5
	s_delay_alu instid0(SALU_CYCLE_1) | instskip(NEXT) | instid1(SALU_CYCLE_1)
	s_and_b32 s81, s80, s2
	s_and_saveexec_b32 s80, s81
	s_cbranch_execz .LBB6_25
; %bb.24:                               ;   in Loop: Header=BB6_3 Depth=1
	global_load_u16 v14, v[4:5], off offset:20
	global_load_u16 v15, v[6:7], off offset:2
	s_wait_loadcnt 0x0
	v_fma_mix_f32 v12, v14, v15, v12 op_sel_hi:[1,1,0]
.LBB6_25:                               ;   in Loop: Header=BB6_3 Depth=1
	s_wait_xcnt 0x0
	s_or_b32 exec_lo, exec_lo, s80
	s_and_b32 s79, s79, s3
	s_delay_alu instid0(SALU_CYCLE_1) | instskip(NEXT) | instid1(SALU_CYCLE_1)
	s_and_b32 s79, s79, s11
	s_and_b32 s79, s79, s5
	s_delay_alu instid0(SALU_CYCLE_1) | instskip(NEXT) | instid1(SALU_CYCLE_1)
	s_and_b32 s80, s79, s4
	s_and_saveexec_b32 s79, s80
	s_cbranch_execz .LBB6_27
; %bb.26:                               ;   in Loop: Header=BB6_3 Depth=1
	global_load_u16 v14, v[4:5], off offset:22
	global_load_u16 v15, v[6:7], off offset:4
	s_wait_loadcnt 0x0
	v_fma_mix_f32 v12, v14, v15, v12 op_sel_hi:[1,1,0]
.LBB6_27:                               ;   in Loop: Header=BB6_3 Depth=1
	s_wait_xcnt 0x0
	s_or_b32 exec_lo, exec_lo, s79
	s_and_b32 s79, s12, s9
	v_lshl_add_u64 v[6:7], s[46:47], 1, v[6:7]
	s_and_b32 s80, s79, vcc_lo
	s_delay_alu instid0(SALU_CYCLE_1) | instskip(NEXT) | instid1(SALU_CYCLE_1)
	s_and_b32 s80, s80, s11
	s_and_b32 s80, s80, s6
	s_delay_alu instid0(SALU_CYCLE_1) | instskip(NEXT) | instid1(SALU_CYCLE_1)
	s_and_b32 s81, s80, s0
	s_and_saveexec_b32 s80, s81
	s_cbranch_execz .LBB6_29
; %bb.28:                               ;   in Loop: Header=BB6_3 Depth=1
	global_load_u16 v14, v[4:5], off offset:24
	global_load_u16 v15, v[6:7], off
	s_wait_loadcnt 0x0
	v_fma_mix_f32 v12, v14, v15, v12 op_sel_hi:[1,1,0]
.LBB6_29:                               ;   in Loop: Header=BB6_3 Depth=1
	s_wait_xcnt 0x0
	s_or_b32 exec_lo, exec_lo, s80
	s_and_b32 s80, s79, s1
	s_delay_alu instid0(SALU_CYCLE_1) | instskip(NEXT) | instid1(SALU_CYCLE_1)
	s_and_b32 s80, s80, s11
	s_and_b32 s80, s80, s6
	s_delay_alu instid0(SALU_CYCLE_1) | instskip(NEXT) | instid1(SALU_CYCLE_1)
	s_and_b32 s81, s80, s2
	s_and_saveexec_b32 s80, s81
	s_cbranch_execz .LBB6_31
; %bb.30:                               ;   in Loop: Header=BB6_3 Depth=1
	global_load_u16 v14, v[4:5], off offset:26
	global_load_u16 v15, v[6:7], off offset:2
	s_wait_loadcnt 0x0
	v_fma_mix_f32 v12, v14, v15, v12 op_sel_hi:[1,1,0]
.LBB6_31:                               ;   in Loop: Header=BB6_3 Depth=1
	s_wait_xcnt 0x0
	s_or_b32 exec_lo, exec_lo, s80
	s_and_b32 s79, s79, s3
	s_delay_alu instid0(SALU_CYCLE_1) | instskip(NEXT) | instid1(SALU_CYCLE_1)
	s_and_b32 s79, s79, s11
	s_and_b32 s79, s79, s6
	s_delay_alu instid0(SALU_CYCLE_1) | instskip(NEXT) | instid1(SALU_CYCLE_1)
	s_and_b32 s80, s79, s4
	s_and_saveexec_b32 s79, s80
	s_cbranch_execz .LBB6_33
; %bb.32:                               ;   in Loop: Header=BB6_3 Depth=1
	global_load_u16 v14, v[4:5], off offset:28
	global_load_u16 v15, v[6:7], off offset:4
	s_wait_loadcnt 0x0
	v_fma_mix_f32 v12, v14, v15, v12 op_sel_hi:[1,1,0]
.LBB6_33:                               ;   in Loop: Header=BB6_3 Depth=1
	s_wait_xcnt 0x0
	s_or_b32 exec_lo, exec_lo, s79
	s_and_b32 s12, s12, s10
	v_lshl_add_u64 v[6:7], s[46:47], 1, v[6:7]
	s_and_b32 s79, s12, vcc_lo
	s_delay_alu instid0(SALU_CYCLE_1) | instskip(NEXT) | instid1(SALU_CYCLE_1)
	s_and_b32 s79, s79, s11
	s_and_b32 s79, s79, s7
	s_delay_alu instid0(SALU_CYCLE_1) | instskip(NEXT) | instid1(SALU_CYCLE_1)
	s_and_b32 s80, s79, s0
	s_and_saveexec_b32 s79, s80
	s_cbranch_execz .LBB6_35
; %bb.34:                               ;   in Loop: Header=BB6_3 Depth=1
	global_load_u16 v14, v[4:5], off offset:30
	global_load_u16 v15, v[6:7], off
	s_wait_loadcnt 0x0
	v_fma_mix_f32 v12, v14, v15, v12 op_sel_hi:[1,1,0]
.LBB6_35:                               ;   in Loop: Header=BB6_3 Depth=1
	s_wait_xcnt 0x0
	s_or_b32 exec_lo, exec_lo, s79
	s_and_b32 s79, s12, s1
	s_delay_alu instid0(SALU_CYCLE_1) | instskip(NEXT) | instid1(SALU_CYCLE_1)
	s_and_b32 s79, s79, s11
	s_and_b32 s79, s79, s7
	s_delay_alu instid0(SALU_CYCLE_1) | instskip(NEXT) | instid1(SALU_CYCLE_1)
	s_and_b32 s80, s79, s2
	s_and_saveexec_b32 s79, s80
	s_cbranch_execz .LBB6_37
; %bb.36:                               ;   in Loop: Header=BB6_3 Depth=1
	global_load_u16 v14, v[4:5], off offset:32
	global_load_u16 v15, v[6:7], off offset:2
	s_wait_loadcnt 0x0
	v_fma_mix_f32 v12, v14, v15, v12 op_sel_hi:[1,1,0]
.LBB6_37:                               ;   in Loop: Header=BB6_3 Depth=1
	s_wait_xcnt 0x0
	s_or_b32 exec_lo, exec_lo, s79
	s_and_b32 s12, s12, s3
	s_delay_alu instid0(SALU_CYCLE_1) | instskip(NEXT) | instid1(SALU_CYCLE_1)
	s_and_b32 s11, s12, s11
	s_and_b32 s11, s11, s7
	s_delay_alu instid0(SALU_CYCLE_1) | instskip(NEXT) | instid1(SALU_CYCLE_1)
	s_and_b32 s12, s11, s4
	s_and_saveexec_b32 s11, s12
	s_cbranch_execz .LBB6_39
; %bb.38:                               ;   in Loop: Header=BB6_3 Depth=1
	global_load_u16 v14, v[4:5], off offset:34
	global_load_u16 v15, v[6:7], off offset:4
	s_wait_loadcnt 0x0
	v_fma_mix_f32 v12, v14, v15, v12 op_sel_hi:[1,1,0]
.LBB6_39:                               ;   in Loop: Header=BB6_3 Depth=1
	s_wait_xcnt 0x0
	s_or_b32 exec_lo, exec_lo, s11
	v_add_nc_u32_e32 v14, 2, v13
	v_cmp_lt_i32_e64 s12, -3, v13
	v_lshl_add_u64 v[6:7], s[46:47], 1, v[6:7]
	s_delay_alu instid0(VALU_DEP_3) | instskip(SKIP_3) | instid1(SALU_CYCLE_1)
	v_cmp_gt_i32_e64 s11, s13, v14
	s_and_b32 s8, s12, s8
	v_lshl_add_u64 v[6:7], s[48:49], 1, v[6:7]
	s_and_b32 s79, s8, vcc_lo
	s_and_b32 s79, s79, s11
	s_delay_alu instid0(SALU_CYCLE_1) | instskip(NEXT) | instid1(SALU_CYCLE_1)
	s_and_b32 s79, s79, s5
	s_and_b32 s80, s79, s0
	s_delay_alu instid0(SALU_CYCLE_1)
	s_and_saveexec_b32 s79, s80
	s_cbranch_execz .LBB6_41
; %bb.40:                               ;   in Loop: Header=BB6_3 Depth=1
	global_load_u16 v13, v[4:5], off offset:36
	global_load_u16 v14, v[6:7], off
	s_wait_loadcnt 0x0
	v_fma_mix_f32 v12, v13, v14, v12 op_sel_hi:[1,1,0]
.LBB6_41:                               ;   in Loop: Header=BB6_3 Depth=1
	s_wait_xcnt 0x0
	s_or_b32 exec_lo, exec_lo, s79
	s_and_b32 s79, s8, s1
	s_delay_alu instid0(SALU_CYCLE_1) | instskip(NEXT) | instid1(SALU_CYCLE_1)
	s_and_b32 s79, s79, s11
	s_and_b32 s79, s79, s5
	s_delay_alu instid0(SALU_CYCLE_1) | instskip(NEXT) | instid1(SALU_CYCLE_1)
	s_and_b32 s80, s79, s2
	s_and_saveexec_b32 s79, s80
	s_cbranch_execz .LBB6_43
; %bb.42:                               ;   in Loop: Header=BB6_3 Depth=1
	global_load_u16 v13, v[4:5], off offset:38
	global_load_u16 v14, v[6:7], off offset:2
	s_wait_loadcnt 0x0
	v_fma_mix_f32 v12, v13, v14, v12 op_sel_hi:[1,1,0]
.LBB6_43:                               ;   in Loop: Header=BB6_3 Depth=1
	s_wait_xcnt 0x0
	s_or_b32 exec_lo, exec_lo, s79
	s_and_b32 s8, s8, s3
	s_delay_alu instid0(SALU_CYCLE_1) | instskip(NEXT) | instid1(SALU_CYCLE_1)
	s_and_b32 s8, s8, s11
	s_and_b32 s5, s8, s5
	s_delay_alu instid0(SALU_CYCLE_1) | instskip(NEXT) | instid1(SALU_CYCLE_1)
	s_and_b32 s8, s5, s4
	s_and_saveexec_b32 s5, s8
	s_cbranch_execz .LBB6_45
; %bb.44:                               ;   in Loop: Header=BB6_3 Depth=1
	global_load_u16 v13, v[4:5], off offset:40
	global_load_u16 v14, v[6:7], off offset:4
	s_wait_loadcnt 0x0
	v_fma_mix_f32 v12, v13, v14, v12 op_sel_hi:[1,1,0]
.LBB6_45:                               ;   in Loop: Header=BB6_3 Depth=1
	s_wait_xcnt 0x0
	s_or_b32 exec_lo, exec_lo, s5
	s_and_b32 s5, s12, s9
	v_lshl_add_u64 v[6:7], s[46:47], 1, v[6:7]
	s_and_b32 s8, s5, vcc_lo
	s_delay_alu instid0(SALU_CYCLE_1) | instskip(NEXT) | instid1(SALU_CYCLE_1)
	s_and_b32 s8, s8, s11
	s_and_b32 s8, s8, s6
	s_delay_alu instid0(SALU_CYCLE_1) | instskip(NEXT) | instid1(SALU_CYCLE_1)
	s_and_b32 s9, s8, s0
	s_and_saveexec_b32 s8, s9
	s_cbranch_execz .LBB6_47
; %bb.46:                               ;   in Loop: Header=BB6_3 Depth=1
	global_load_u16 v13, v[4:5], off offset:42
	global_load_u16 v14, v[6:7], off
	s_wait_loadcnt 0x0
	v_fma_mix_f32 v12, v13, v14, v12 op_sel_hi:[1,1,0]
.LBB6_47:                               ;   in Loop: Header=BB6_3 Depth=1
	s_wait_xcnt 0x0
	s_or_b32 exec_lo, exec_lo, s8
	s_and_b32 s8, s5, s1
	s_delay_alu instid0(SALU_CYCLE_1) | instskip(NEXT) | instid1(SALU_CYCLE_1)
	s_and_b32 s8, s8, s11
	s_and_b32 s8, s8, s6
	s_delay_alu instid0(SALU_CYCLE_1) | instskip(NEXT) | instid1(SALU_CYCLE_1)
	s_and_b32 s9, s8, s2
	s_and_saveexec_b32 s8, s9
	s_cbranch_execz .LBB6_49
; %bb.48:                               ;   in Loop: Header=BB6_3 Depth=1
	global_load_u16 v13, v[4:5], off offset:44
	global_load_u16 v14, v[6:7], off offset:2
	s_wait_loadcnt 0x0
	v_fma_mix_f32 v12, v13, v14, v12 op_sel_hi:[1,1,0]
.LBB6_49:                               ;   in Loop: Header=BB6_3 Depth=1
	s_wait_xcnt 0x0
	s_or_b32 exec_lo, exec_lo, s8
	s_and_b32 s5, s5, s3
	s_delay_alu instid0(SALU_CYCLE_1) | instskip(NEXT) | instid1(SALU_CYCLE_1)
	s_and_b32 s5, s5, s11
	s_and_b32 s5, s5, s6
	s_delay_alu instid0(SALU_CYCLE_1) | instskip(NEXT) | instid1(SALU_CYCLE_1)
	s_and_b32 s6, s5, s4
	s_and_saveexec_b32 s5, s6
	s_cbranch_execz .LBB6_51
; %bb.50:                               ;   in Loop: Header=BB6_3 Depth=1
	global_load_u16 v13, v[4:5], off offset:46
	global_load_u16 v14, v[6:7], off offset:4
	s_wait_loadcnt 0x0
	v_fma_mix_f32 v12, v13, v14, v12 op_sel_hi:[1,1,0]
.LBB6_51:                               ;   in Loop: Header=BB6_3 Depth=1
	s_wait_xcnt 0x0
	s_or_b32 exec_lo, exec_lo, s5
	s_and_b32 s5, s12, s10
	v_lshl_add_u64 v[6:7], s[46:47], 1, v[6:7]
	s_and_b32 s6, s5, vcc_lo
	s_delay_alu instid0(SALU_CYCLE_1) | instskip(NEXT) | instid1(SALU_CYCLE_1)
	s_and_b32 s6, s6, s11
	s_and_b32 s6, s6, s7
	s_delay_alu instid0(SALU_CYCLE_1) | instskip(NEXT) | instid1(SALU_CYCLE_1)
	s_and_b32 s6, s6, s0
	s_and_saveexec_b32 s0, s6
	s_cbranch_execz .LBB6_53
; %bb.52:                               ;   in Loop: Header=BB6_3 Depth=1
	global_load_u16 v13, v[4:5], off offset:48
	global_load_u16 v14, v[6:7], off
	s_wait_loadcnt 0x0
	v_fma_mix_f32 v12, v13, v14, v12 op_sel_hi:[1,1,0]
.LBB6_53:                               ;   in Loop: Header=BB6_3 Depth=1
	s_wait_xcnt 0x0
	s_or_b32 exec_lo, exec_lo, s0
	s_and_b32 s0, s5, s1
	s_delay_alu instid0(SALU_CYCLE_1) | instskip(NEXT) | instid1(SALU_CYCLE_1)
	s_and_b32 s0, s0, s11
	s_and_b32 s0, s0, s7
	s_delay_alu instid0(SALU_CYCLE_1) | instskip(NEXT) | instid1(SALU_CYCLE_1)
	s_and_b32 s1, s0, s2
	s_and_saveexec_b32 s0, s1
	s_cbranch_execz .LBB6_55
; %bb.54:                               ;   in Loop: Header=BB6_3 Depth=1
	global_load_u16 v13, v[4:5], off offset:50
	global_load_u16 v14, v[6:7], off offset:2
	s_wait_loadcnt 0x0
	v_fma_mix_f32 v12, v13, v14, v12 op_sel_hi:[1,1,0]
.LBB6_55:                               ;   in Loop: Header=BB6_3 Depth=1
	s_wait_xcnt 0x0
	s_or_b32 exec_lo, exec_lo, s0
	s_and_b32 s0, s5, s3
	s_delay_alu instid0(SALU_CYCLE_1) | instskip(NEXT) | instid1(SALU_CYCLE_1)
	s_and_b32 s0, s0, s11
	s_and_b32 s0, s0, s7
	s_delay_alu instid0(SALU_CYCLE_1) | instskip(NEXT) | instid1(SALU_CYCLE_1)
	s_and_b32 s1, s0, s4
	s_and_saveexec_b32 s0, s1
	s_cbranch_execz .LBB6_57
; %bb.56:                               ;   in Loop: Header=BB6_3 Depth=1
	global_load_u16 v4, v[4:5], off offset:52
	global_load_u16 v5, v[6:7], off offset:4
	s_wait_loadcnt 0x0
	v_fma_mix_f32 v12, v4, v5, v12 op_sel_hi:[1,1,0]
.LBB6_57:                               ;   in Loop: Header=BB6_3 Depth=1
	s_wait_xcnt 0x0
	s_or_b32 exec_lo, exec_lo, s0
	s_delay_alu instid0(SALU_CYCLE_1)
	s_and_not1_b32 vcc_lo, exec_lo, s43
	s_cbranch_vccnz .LBB6_2
; %bb.58:                               ;   in Loop: Header=BB6_3 Depth=1
	global_load_u16 v4, v8, s[44:45] scale_offset
	s_wait_loadcnt 0x0
	v_cvt_f32_f16_e32 v4, v4
	s_delay_alu instid0(VALU_DEP_1)
	v_add_f32_e32 v12, v12, v4
	s_branch .LBB6_2
.LBB6_59:
	s_endpgm
	.section	.rodata,"a",@progbits
	.p2align	6, 0x0
	.amdhsa_kernel _ZN2at6native12_GLOBAL__N_128conv_depthwise3d_cuda_kernelIN3c104HalfEfLi3ELi3ELi3ELi1ELi1ELi1EEEvN5torch10headeronly6detail27GenericPackedTensorAccessorINS7_14TensorAccessorINS3_8ArrayRefIlEEKT_Lm4ENS6_16DefaultPtrTraitsEiEENS_6detail16IndexBoundsCheckILm5EiEESD_Lm5ESE_iEENS8_INS9_ISB_SC_Lm4ESE_iEESI_SC_Lm5ESE_iEESJ_PSD_iiiiiiiii
		.amdhsa_group_segment_fixed_size 0
		.amdhsa_private_segment_fixed_size 0
		.amdhsa_kernarg_size 448
		.amdhsa_user_sgpr_count 2
		.amdhsa_user_sgpr_dispatch_ptr 0
		.amdhsa_user_sgpr_queue_ptr 0
		.amdhsa_user_sgpr_kernarg_segment_ptr 1
		.amdhsa_user_sgpr_dispatch_id 0
		.amdhsa_user_sgpr_kernarg_preload_length 0
		.amdhsa_user_sgpr_kernarg_preload_offset 0
		.amdhsa_user_sgpr_private_segment_size 0
		.amdhsa_wavefront_size32 1
		.amdhsa_uses_dynamic_stack 0
		.amdhsa_enable_private_segment 0
		.amdhsa_system_sgpr_workgroup_id_x 1
		.amdhsa_system_sgpr_workgroup_id_y 0
		.amdhsa_system_sgpr_workgroup_id_z 0
		.amdhsa_system_sgpr_workgroup_info 0
		.amdhsa_system_vgpr_workitem_id 0
		.amdhsa_next_free_vgpr 24
		.amdhsa_next_free_sgpr 82
		.amdhsa_named_barrier_count 0
		.amdhsa_reserve_vcc 1
		.amdhsa_float_round_mode_32 0
		.amdhsa_float_round_mode_16_64 0
		.amdhsa_float_denorm_mode_32 3
		.amdhsa_float_denorm_mode_16_64 3
		.amdhsa_fp16_overflow 0
		.amdhsa_memory_ordered 1
		.amdhsa_forward_progress 1
		.amdhsa_inst_pref_size 32
		.amdhsa_round_robin_scheduling 0
		.amdhsa_exception_fp_ieee_invalid_op 0
		.amdhsa_exception_fp_denorm_src 0
		.amdhsa_exception_fp_ieee_div_zero 0
		.amdhsa_exception_fp_ieee_overflow 0
		.amdhsa_exception_fp_ieee_underflow 0
		.amdhsa_exception_fp_ieee_inexact 0
		.amdhsa_exception_int_div_zero 0
	.end_amdhsa_kernel
	.section	.text._ZN2at6native12_GLOBAL__N_128conv_depthwise3d_cuda_kernelIN3c104HalfEfLi3ELi3ELi3ELi1ELi1ELi1EEEvN5torch10headeronly6detail27GenericPackedTensorAccessorINS7_14TensorAccessorINS3_8ArrayRefIlEEKT_Lm4ENS6_16DefaultPtrTraitsEiEENS_6detail16IndexBoundsCheckILm5EiEESD_Lm5ESE_iEENS8_INS9_ISB_SC_Lm4ESE_iEESI_SC_Lm5ESE_iEESJ_PSD_iiiiiiiii,"axG",@progbits,_ZN2at6native12_GLOBAL__N_128conv_depthwise3d_cuda_kernelIN3c104HalfEfLi3ELi3ELi3ELi1ELi1ELi1EEEvN5torch10headeronly6detail27GenericPackedTensorAccessorINS7_14TensorAccessorINS3_8ArrayRefIlEEKT_Lm4ENS6_16DefaultPtrTraitsEiEENS_6detail16IndexBoundsCheckILm5EiEESD_Lm5ESE_iEENS8_INS9_ISB_SC_Lm4ESE_iEESI_SC_Lm5ESE_iEESJ_PSD_iiiiiiiii,comdat
.Lfunc_end6:
	.size	_ZN2at6native12_GLOBAL__N_128conv_depthwise3d_cuda_kernelIN3c104HalfEfLi3ELi3ELi3ELi1ELi1ELi1EEEvN5torch10headeronly6detail27GenericPackedTensorAccessorINS7_14TensorAccessorINS3_8ArrayRefIlEEKT_Lm4ENS6_16DefaultPtrTraitsEiEENS_6detail16IndexBoundsCheckILm5EiEESD_Lm5ESE_iEENS8_INS9_ISB_SC_Lm4ESE_iEESI_SC_Lm5ESE_iEESJ_PSD_iiiiiiiii, .Lfunc_end6-_ZN2at6native12_GLOBAL__N_128conv_depthwise3d_cuda_kernelIN3c104HalfEfLi3ELi3ELi3ELi1ELi1ELi1EEEvN5torch10headeronly6detail27GenericPackedTensorAccessorINS7_14TensorAccessorINS3_8ArrayRefIlEEKT_Lm4ENS6_16DefaultPtrTraitsEiEENS_6detail16IndexBoundsCheckILm5EiEESD_Lm5ESE_iEENS8_INS9_ISB_SC_Lm4ESE_iEESI_SC_Lm5ESE_iEESJ_PSD_iiiiiiiii
                                        ; -- End function
	.set _ZN2at6native12_GLOBAL__N_128conv_depthwise3d_cuda_kernelIN3c104HalfEfLi3ELi3ELi3ELi1ELi1ELi1EEEvN5torch10headeronly6detail27GenericPackedTensorAccessorINS7_14TensorAccessorINS3_8ArrayRefIlEEKT_Lm4ENS6_16DefaultPtrTraitsEiEENS_6detail16IndexBoundsCheckILm5EiEESD_Lm5ESE_iEENS8_INS9_ISB_SC_Lm4ESE_iEESI_SC_Lm5ESE_iEESJ_PSD_iiiiiiiii.num_vgpr, 24
	.set _ZN2at6native12_GLOBAL__N_128conv_depthwise3d_cuda_kernelIN3c104HalfEfLi3ELi3ELi3ELi1ELi1ELi1EEEvN5torch10headeronly6detail27GenericPackedTensorAccessorINS7_14TensorAccessorINS3_8ArrayRefIlEEKT_Lm4ENS6_16DefaultPtrTraitsEiEENS_6detail16IndexBoundsCheckILm5EiEESD_Lm5ESE_iEENS8_INS9_ISB_SC_Lm4ESE_iEESI_SC_Lm5ESE_iEESJ_PSD_iiiiiiiii.num_agpr, 0
	.set _ZN2at6native12_GLOBAL__N_128conv_depthwise3d_cuda_kernelIN3c104HalfEfLi3ELi3ELi3ELi1ELi1ELi1EEEvN5torch10headeronly6detail27GenericPackedTensorAccessorINS7_14TensorAccessorINS3_8ArrayRefIlEEKT_Lm4ENS6_16DefaultPtrTraitsEiEENS_6detail16IndexBoundsCheckILm5EiEESD_Lm5ESE_iEENS8_INS9_ISB_SC_Lm4ESE_iEESI_SC_Lm5ESE_iEESJ_PSD_iiiiiiiii.numbered_sgpr, 82
	.set _ZN2at6native12_GLOBAL__N_128conv_depthwise3d_cuda_kernelIN3c104HalfEfLi3ELi3ELi3ELi1ELi1ELi1EEEvN5torch10headeronly6detail27GenericPackedTensorAccessorINS7_14TensorAccessorINS3_8ArrayRefIlEEKT_Lm4ENS6_16DefaultPtrTraitsEiEENS_6detail16IndexBoundsCheckILm5EiEESD_Lm5ESE_iEENS8_INS9_ISB_SC_Lm4ESE_iEESI_SC_Lm5ESE_iEESJ_PSD_iiiiiiiii.num_named_barrier, 0
	.set _ZN2at6native12_GLOBAL__N_128conv_depthwise3d_cuda_kernelIN3c104HalfEfLi3ELi3ELi3ELi1ELi1ELi1EEEvN5torch10headeronly6detail27GenericPackedTensorAccessorINS7_14TensorAccessorINS3_8ArrayRefIlEEKT_Lm4ENS6_16DefaultPtrTraitsEiEENS_6detail16IndexBoundsCheckILm5EiEESD_Lm5ESE_iEENS8_INS9_ISB_SC_Lm4ESE_iEESI_SC_Lm5ESE_iEESJ_PSD_iiiiiiiii.private_seg_size, 0
	.set _ZN2at6native12_GLOBAL__N_128conv_depthwise3d_cuda_kernelIN3c104HalfEfLi3ELi3ELi3ELi1ELi1ELi1EEEvN5torch10headeronly6detail27GenericPackedTensorAccessorINS7_14TensorAccessorINS3_8ArrayRefIlEEKT_Lm4ENS6_16DefaultPtrTraitsEiEENS_6detail16IndexBoundsCheckILm5EiEESD_Lm5ESE_iEENS8_INS9_ISB_SC_Lm4ESE_iEESI_SC_Lm5ESE_iEESJ_PSD_iiiiiiiii.uses_vcc, 1
	.set _ZN2at6native12_GLOBAL__N_128conv_depthwise3d_cuda_kernelIN3c104HalfEfLi3ELi3ELi3ELi1ELi1ELi1EEEvN5torch10headeronly6detail27GenericPackedTensorAccessorINS7_14TensorAccessorINS3_8ArrayRefIlEEKT_Lm4ENS6_16DefaultPtrTraitsEiEENS_6detail16IndexBoundsCheckILm5EiEESD_Lm5ESE_iEENS8_INS9_ISB_SC_Lm4ESE_iEESI_SC_Lm5ESE_iEESJ_PSD_iiiiiiiii.uses_flat_scratch, 0
	.set _ZN2at6native12_GLOBAL__N_128conv_depthwise3d_cuda_kernelIN3c104HalfEfLi3ELi3ELi3ELi1ELi1ELi1EEEvN5torch10headeronly6detail27GenericPackedTensorAccessorINS7_14TensorAccessorINS3_8ArrayRefIlEEKT_Lm4ENS6_16DefaultPtrTraitsEiEENS_6detail16IndexBoundsCheckILm5EiEESD_Lm5ESE_iEENS8_INS9_ISB_SC_Lm4ESE_iEESI_SC_Lm5ESE_iEESJ_PSD_iiiiiiiii.has_dyn_sized_stack, 0
	.set _ZN2at6native12_GLOBAL__N_128conv_depthwise3d_cuda_kernelIN3c104HalfEfLi3ELi3ELi3ELi1ELi1ELi1EEEvN5torch10headeronly6detail27GenericPackedTensorAccessorINS7_14TensorAccessorINS3_8ArrayRefIlEEKT_Lm4ENS6_16DefaultPtrTraitsEiEENS_6detail16IndexBoundsCheckILm5EiEESD_Lm5ESE_iEENS8_INS9_ISB_SC_Lm4ESE_iEESI_SC_Lm5ESE_iEESJ_PSD_iiiiiiiii.has_recursion, 0
	.set _ZN2at6native12_GLOBAL__N_128conv_depthwise3d_cuda_kernelIN3c104HalfEfLi3ELi3ELi3ELi1ELi1ELi1EEEvN5torch10headeronly6detail27GenericPackedTensorAccessorINS7_14TensorAccessorINS3_8ArrayRefIlEEKT_Lm4ENS6_16DefaultPtrTraitsEiEENS_6detail16IndexBoundsCheckILm5EiEESD_Lm5ESE_iEENS8_INS9_ISB_SC_Lm4ESE_iEESI_SC_Lm5ESE_iEESJ_PSD_iiiiiiiii.has_indirect_call, 0
	.section	.AMDGPU.csdata,"",@progbits
; Kernel info:
; codeLenInByte = 4064
; TotalNumSgprs: 84
; NumVgprs: 24
; ScratchSize: 0
; MemoryBound: 0
; FloatMode: 240
; IeeeMode: 1
; LDSByteSize: 0 bytes/workgroup (compile time only)
; SGPRBlocks: 0
; VGPRBlocks: 1
; NumSGPRsForWavesPerEU: 84
; NumVGPRsForWavesPerEU: 24
; NamedBarCnt: 0
; Occupancy: 16
; WaveLimiterHint : 0
; COMPUTE_PGM_RSRC2:SCRATCH_EN: 0
; COMPUTE_PGM_RSRC2:USER_SGPR: 2
; COMPUTE_PGM_RSRC2:TRAP_HANDLER: 0
; COMPUTE_PGM_RSRC2:TGID_X_EN: 1
; COMPUTE_PGM_RSRC2:TGID_Y_EN: 0
; COMPUTE_PGM_RSRC2:TGID_Z_EN: 0
; COMPUTE_PGM_RSRC2:TIDIG_COMP_CNT: 0
	.section	.text._ZN2at6native12_GLOBAL__N_128conv_depthwise3d_cuda_kernelIN3c104HalfEfLin1ELin1ELin1ELi1ELi1ELi1EEEvN5torch10headeronly6detail27GenericPackedTensorAccessorINS7_14TensorAccessorINS3_8ArrayRefIlEEKT_Lm4ENS6_16DefaultPtrTraitsEiEENS_6detail16IndexBoundsCheckILm5EiEESD_Lm5ESE_iEENS8_INS9_ISB_SC_Lm4ESE_iEESI_SC_Lm5ESE_iEESJ_PSD_iiiiiiiii,"axG",@progbits,_ZN2at6native12_GLOBAL__N_128conv_depthwise3d_cuda_kernelIN3c104HalfEfLin1ELin1ELin1ELi1ELi1ELi1EEEvN5torch10headeronly6detail27GenericPackedTensorAccessorINS7_14TensorAccessorINS3_8ArrayRefIlEEKT_Lm4ENS6_16DefaultPtrTraitsEiEENS_6detail16IndexBoundsCheckILm5EiEESD_Lm5ESE_iEENS8_INS9_ISB_SC_Lm4ESE_iEESI_SC_Lm5ESE_iEESJ_PSD_iiiiiiiii,comdat
	.globl	_ZN2at6native12_GLOBAL__N_128conv_depthwise3d_cuda_kernelIN3c104HalfEfLin1ELin1ELin1ELi1ELi1ELi1EEEvN5torch10headeronly6detail27GenericPackedTensorAccessorINS7_14TensorAccessorINS3_8ArrayRefIlEEKT_Lm4ENS6_16DefaultPtrTraitsEiEENS_6detail16IndexBoundsCheckILm5EiEESD_Lm5ESE_iEENS8_INS9_ISB_SC_Lm4ESE_iEESI_SC_Lm5ESE_iEESJ_PSD_iiiiiiiii ; -- Begin function _ZN2at6native12_GLOBAL__N_128conv_depthwise3d_cuda_kernelIN3c104HalfEfLin1ELin1ELin1ELi1ELi1ELi1EEEvN5torch10headeronly6detail27GenericPackedTensorAccessorINS7_14TensorAccessorINS3_8ArrayRefIlEEKT_Lm4ENS6_16DefaultPtrTraitsEiEENS_6detail16IndexBoundsCheckILm5EiEESD_Lm5ESE_iEENS8_INS9_ISB_SC_Lm4ESE_iEESI_SC_Lm5ESE_iEESJ_PSD_iiiiiiiii
	.p2align	8
	.type	_ZN2at6native12_GLOBAL__N_128conv_depthwise3d_cuda_kernelIN3c104HalfEfLin1ELin1ELin1ELi1ELi1ELi1EEEvN5torch10headeronly6detail27GenericPackedTensorAccessorINS7_14TensorAccessorINS3_8ArrayRefIlEEKT_Lm4ENS6_16DefaultPtrTraitsEiEENS_6detail16IndexBoundsCheckILm5EiEESD_Lm5ESE_iEENS8_INS9_ISB_SC_Lm4ESE_iEESI_SC_Lm5ESE_iEESJ_PSD_iiiiiiiii,@function
_ZN2at6native12_GLOBAL__N_128conv_depthwise3d_cuda_kernelIN3c104HalfEfLin1ELin1ELin1ELi1ELi1ELi1EEEvN5torch10headeronly6detail27GenericPackedTensorAccessorINS7_14TensorAccessorINS3_8ArrayRefIlEEKT_Lm4ENS6_16DefaultPtrTraitsEiEENS_6detail16IndexBoundsCheckILm5EiEESD_Lm5ESE_iEENS8_INS9_ISB_SC_Lm4ESE_iEESI_SC_Lm5ESE_iEESJ_PSD_iiiiiiiii: ; @_ZN2at6native12_GLOBAL__N_128conv_depthwise3d_cuda_kernelIN3c104HalfEfLin1ELin1ELin1ELi1ELi1ELi1EEEvN5torch10headeronly6detail27GenericPackedTensorAccessorINS7_14TensorAccessorINS3_8ArrayRefIlEEKT_Lm4ENS6_16DefaultPtrTraitsEiEENS_6detail16IndexBoundsCheckILm5EiEESD_Lm5ESE_iEENS8_INS9_ISB_SC_Lm4ESE_iEESI_SC_Lm5ESE_iEESJ_PSD_iiiiiiiii
; %bb.0:
	s_clause 0x2
	s_load_b128 s[4:7], s[0:1], 0xc
	s_load_b32 s2, s[0:1], 0xcc
	s_load_b64 s[28:29], s[0:1], 0x48
	s_bfe_u32 s3, ttmp6, 0x4000c
	s_load_b128 s[8:11], s[0:1], 0x38
	s_add_co_i32 s3, s3, 1
	s_and_b32 s12, ttmp6, 15
	s_mul_i32 s3, ttmp9, s3
	s_getreg_b32 s13, hwreg(HW_REG_IB_STS2, 6, 4)
	v_mov_b32_e32 v1, 0
	s_add_co_i32 s12, s12, s3
	s_mov_b32 s35, 0
	s_wait_kmcnt 0x0
	s_abs_i32 s16, s4
	s_and_b32 s2, s2, 0xffff
	s_cmp_eq_u32 s13, 0
	s_mul_i32 s30, s29, s8
	s_cselect_b32 s3, ttmp9, s12
	s_ashr_i32 s31, s30, 31
	v_mad_nc_u64_u32 v[2:3], s2, s3, v[0:1]
	s_cvt_f32_u32 s3, s16
	s_mov_b32 s8, exec_lo
	s_delay_alu instid0(SALU_CYCLE_2) | instskip(SKIP_1) | instid1(TRANS32_DEP_1)
	v_rcp_iflag_f32_e32 v0, s3
	v_nop
	v_readfirstlane_b32 s3, v0
	s_delay_alu instid0(VALU_DEP_3)
	v_cmpx_gt_i64_e64 s[30:31], v[2:3]
	s_cbranch_execz .LBB7_17
; %bb.1:
	s_mul_f32 s3, s3, 0x4f7ffffe
	s_sub_co_i32 s12, 0, s16
	s_abs_i32 s36, s9
	s_mov_b32 s37, s35
	s_cvt_u32_f32 s8, s3
	s_ashr_i32 s3, s9, 31
	s_ashr_i32 s4, s4, 31
	s_add_nc_u64 s[20:21], s[0:1], 0xc0
	s_mul_i32 s12, s12, s8
	s_xor_b32 s4, s3, s4
	s_mul_hi_u32 s12, s8, s12
	s_cvt_f32_u32 s52, s36
	s_add_co_i32 s34, s8, s12
	s_clause 0x1
	s_load_b128 s[12:15], s[0:1], 0x70
	s_load_b64 s[38:39], s[0:1], 0x90
	s_mul_u64 s[18:19], s[36:37], s[34:35]
	v_rcp_iflag_f32_e32 v5, s52
	s_mul_i32 s8, s19, s16
	s_add_co_i32 s17, s19, 1
	s_sub_co_i32 s8, s36, s8
	s_mov_b32 s59, s35
	s_sub_co_i32 s18, s8, s16
	s_cmp_ge_u32 s8, s16
	s_mov_b32 s61, s35
	s_cselect_b32 s17, s17, s19
	s_cselect_b32 s8, s18, s8
	s_add_co_i32 s18, s17, 1
	s_cmp_ge_u32 s8, s16
	s_mov_b32 s71, s35
	s_cselect_b32 s8, s18, s17
	s_clause 0x1
	s_load_b128 s[16:19], s[0:1], 0x98
	s_load_b64 s[40:41], s[0:1], 0xa8
	s_xor_b32 s8, s8, s4
	s_load_b32 s34, s[20:21], 0x0
	s_sub_co_i32 s60, s8, s4
	s_wait_kmcnt 0x0
	s_cmp_gt_i32 s12, 0
	s_cselect_b32 s4, -1, 0
	s_cmp_gt_i32 s13, 0
	s_cselect_b32 s8, -1, 0
	;; [unrolled: 2-line block ×3, first 2 shown]
	s_sub_co_i32 s20, s6, s13
	s_sub_co_i32 s42, s7, s14
	s_mul_i32 s44, s7, s20
	s_ashr_i32 s43, s42, 31
	s_ashr_i32 s45, s44, 31
	s_cmp_lg_u64 s[38:39], 0
	s_clause 0x1
	s_load_b64 s[46:47], s[0:1], 0x0
	s_load_b128 s[20:23], s[0:1], 0x1c
	s_cselect_b32 s37, -1, 0
	s_abs_i32 s62, s28
	s_abs_i32 s64, s11
	s_cvt_f32_u32 s24, s62
	s_cvt_f32_u32 s53, s64
	s_clause 0x1
	s_load_b32 s63, s[0:1], 0x2c
	s_load_b64 s[48:49], s[0:1], 0x30
	s_abs_i32 s65, s10
	v_rcp_iflag_f32_e32 v0, s24
	v_rcp_iflag_f32_e32 v4, s53
	s_clause 0x1
	s_load_b64 s[50:51], s[0:1], 0x60
	s_load_b128 s[24:27], s[0:1], 0x50
	s_mul_i32 s34, s34, s2
	s_wait_xcnt 0x0
	s_cvt_f32_u32 s1, s65
	s_sub_co_i32 s52, 0, s64
	s_abs_i32 s68, s60
	v_readfirstlane_b32 s0, v0
	v_readfirstlane_b32 s2, v4
	v_rcp_iflag_f32_e32 v0, s1
	s_mov_b32 s53, s35
	s_ashr_i32 s66, s28, 31
	s_mul_f32 s0, s0, 0x4f7ffffe
	s_mul_f32 s1, s2, 0x4f7ffffe
	s_sub_co_i32 s2, 0, s62
	s_ashr_i32 s67, s11, 31
	s_cvt_u32_f32 s0, s0
	s_cvt_u32_f32 s1, s1
	v_nop
	v_readfirstlane_b32 s55, v0
	s_ashr_i32 s69, s10, 31
	s_mul_i32 s2, s2, s0
	s_mul_i32 s54, s52, s1
	s_mul_hi_u32 s2, s0, s2
	s_ashr_i32 s70, s60, 31
	s_add_co_i32 s52, s0, s2
	s_cvt_f32_u32 s2, s68
	s_mul_hi_u32 s0, s1, s54
	s_delay_alu instid0(SALU_CYCLE_1)
	s_add_co_i32 s54, s1, s0
	s_mul_f32 s0, s55, 0x4f7ffffe
	v_rcp_iflag_f32_e32 v0, s2
	v_readfirstlane_b32 s1, v5
	s_sub_co_i32 s2, 0, s65
	s_cvt_u32_f32 s0, s0
	s_mov_b32 s55, s35
	s_mul_f32 s1, s1, 0x4f7ffffe
	s_delay_alu instid0(TRANS32_DEP_1) | instskip(SKIP_1) | instid1(SALU_CYCLE_1)
	v_readfirstlane_b32 s57, v0
	s_mul_i32 s2, s2, s0
	s_mul_hi_u32 s2, s0, s2
	s_cvt_u32_f32 s1, s1
	s_add_co_i32 s56, s0, s2
	s_sub_co_i32 s0, 0, s36
	s_mul_f32 s2, s57, 0x4f7ffffe
	s_mul_i32 s0, s0, s1
	s_mov_b32 s57, s35
	s_mul_hi_u32 s0, s1, s0
	s_cvt_u32_f32 s2, s2
	s_add_co_i32 s58, s1, s0
	s_sub_co_i32 s0, 0, s68
	s_delay_alu instid0(SALU_CYCLE_1) | instskip(NEXT) | instid1(SALU_CYCLE_1)
	s_mul_i32 s0, s0, s2
	s_mul_hi_u32 s0, s2, s0
	s_delay_alu instid0(SALU_CYCLE_1)
	s_add_co_i32 s60, s2, s0
	s_branch .LBB7_3
.LBB7_2:                                ;   in Loop: Header=BB7_3 Depth=1
	v_mul_lo_u32 v4, v11, s29
	s_wait_kmcnt 0x0
	v_mul_lo_u32 v6, s24, v12
	v_mul_lo_u32 v10, s25, v10
	s_wait_xcnt 0x0
	v_mul_lo_u32 v12, s26, v9
	v_mul_lo_u32 v8, s27, v8
	v_add_nc_u64_e32 v[2:3], s[34:35], v[2:3]
	v_cvt_f16_f32_e32 v0, v0
	v_dual_ashrrev_i32 v5, 31, v4 :: v_dual_ashrrev_i32 v7, 31, v6
	v_dual_ashrrev_i32 v11, 31, v10 :: v_dual_ashrrev_i32 v13, 31, v12
	v_ashrrev_i32_e32 v9, 31, v8
	s_delay_alu instid0(VALU_DEP_3) | instskip(SKIP_1) | instid1(VALU_DEP_2)
	v_lshl_add_u64 v[4:5], v[4:5], 1, s[48:49]
	v_cmp_le_i64_e32 vcc_lo, s[30:31], v[2:3]
	v_lshl_add_u64 v[4:5], v[6:7], 1, v[4:5]
	s_or_b32 s71, vcc_lo, s71
	s_delay_alu instid0(VALU_DEP_1) | instskip(NEXT) | instid1(VALU_DEP_1)
	v_lshl_add_u64 v[4:5], v[10:11], 1, v[4:5]
	v_lshl_add_u64 v[4:5], v[12:13], 1, v[4:5]
	s_delay_alu instid0(VALU_DEP_1)
	v_lshl_add_u64 v[4:5], v[8:9], 1, v[4:5]
	global_store_b16 v[4:5], v0, off
	s_wait_xcnt 0x0
	s_and_not1_b32 exec_lo, exec_lo, s71
	s_cbranch_execz .LBB7_17
.LBB7_3:                                ; =>This Loop Header: Depth=1
                                        ;     Child Loop BB7_6 Depth 2
                                        ;       Child Loop BB7_9 Depth 3
                                        ;         Child Loop BB7_12 Depth 4
	v_sub_nc_u32_e32 v0, 0, v2
	s_delay_alu instid0(VALU_DEP_1) | instskip(NEXT) | instid1(VALU_DEP_1)
	v_max_i32_e32 v0, v2, v0
	v_mul_u64_e32 v[4:5], s[52:53], v[0:1]
	s_delay_alu instid0(VALU_DEP_1) | instskip(NEXT) | instid1(VALU_DEP_1)
	v_mul_lo_u32 v4, v5, s62
	v_dual_sub_nc_u32 v0, v0, v4 :: v_dual_add_nc_u32 v4, 1, v5
	s_delay_alu instid0(VALU_DEP_1) | instskip(NEXT) | instid1(VALU_DEP_2)
	v_cmp_le_u32_e32 vcc_lo, s62, v0
	v_cndmask_b32_e32 v4, v5, v4, vcc_lo
	v_subrev_nc_u32_e32 v6, s62, v0
	v_ashrrev_i32_e32 v5, 31, v2
	s_delay_alu instid0(VALU_DEP_2) | instskip(NEXT) | instid1(VALU_DEP_1)
	v_dual_cndmask_b32 v0, v0, v6, vcc_lo :: v_dual_add_nc_u32 v6, 1, v4
	v_cmp_le_u32_e32 vcc_lo, s62, v0
	s_delay_alu instid0(VALU_DEP_2) | instskip(NEXT) | instid1(VALU_DEP_1)
	v_dual_cndmask_b32 v0, v4, v6, vcc_lo :: v_dual_bitop2_b32 v5, s66, v5 bitop3:0x14
	v_xor_b32_e32 v0, v0, v5
	s_delay_alu instid0(VALU_DEP_1) | instskip(NEXT) | instid1(VALU_DEP_1)
	v_sub_nc_u32_e32 v6, v0, v5
	v_sub_nc_u32_e32 v0, 0, v6
	s_delay_alu instid0(VALU_DEP_1) | instskip(NEXT) | instid1(VALU_DEP_1)
	v_max_i32_e32 v0, v6, v0
	v_mul_u64_e32 v[4:5], s[54:55], v[0:1]
	s_delay_alu instid0(VALU_DEP_1) | instskip(NEXT) | instid1(VALU_DEP_1)
	v_mul_lo_u32 v4, v5, s64
	v_dual_sub_nc_u32 v0, v0, v4 :: v_dual_add_nc_u32 v4, 1, v5
	s_delay_alu instid0(VALU_DEP_1) | instskip(SKIP_1) | instid1(VALU_DEP_2)
	v_subrev_nc_u32_e32 v7, s64, v0
	v_cmp_le_u32_e32 vcc_lo, s64, v0
	v_dual_cndmask_b32 v4, v5, v4, vcc_lo :: v_dual_cndmask_b32 v0, v0, v7, vcc_lo
	s_delay_alu instid0(VALU_DEP_1) | instskip(NEXT) | instid1(VALU_DEP_2)
	v_dual_ashrrev_i32 v5, 31, v6 :: v_dual_add_nc_u32 v7, 1, v4
	v_cmp_le_u32_e32 vcc_lo, s64, v0
	s_delay_alu instid0(VALU_DEP_2) | instskip(NEXT) | instid1(VALU_DEP_1)
	v_dual_cndmask_b32 v0, v4, v7, vcc_lo :: v_dual_bitop2_b32 v5, s67, v5 bitop3:0x14
	v_xor_b32_e32 v0, v0, v5
	s_delay_alu instid0(VALU_DEP_1) | instskip(NEXT) | instid1(VALU_DEP_1)
	v_sub_nc_u32_e32 v7, v0, v5
	v_sub_nc_u32_e32 v0, 0, v7
	s_delay_alu instid0(VALU_DEP_1) | instskip(NEXT) | instid1(VALU_DEP_1)
	v_max_i32_e32 v0, v7, v0
	v_mul_u64_e32 v[4:5], s[56:57], v[0:1]
	s_delay_alu instid0(VALU_DEP_1) | instskip(NEXT) | instid1(VALU_DEP_1)
	v_mul_lo_u32 v4, v5, s65
	v_dual_sub_nc_u32 v0, v0, v4 :: v_dual_add_nc_u32 v4, 1, v5
	s_delay_alu instid0(VALU_DEP_1) | instskip(SKIP_1) | instid1(VALU_DEP_3)
	v_subrev_nc_u32_e32 v8, s65, v0
	v_cmp_le_u32_e32 vcc_lo, s65, v0
	v_dual_cndmask_b32 v4, v5, v4 :: v_dual_ashrrev_i32 v5, 31, v7
	s_delay_alu instid0(VALU_DEP_1) | instskip(NEXT) | instid1(VALU_DEP_2)
	v_dual_cndmask_b32 v0, v0, v8, vcc_lo :: v_dual_bitop2_b32 v5, s69, v5 bitop3:0x14
	v_add_nc_u32_e32 v8, 1, v4
	s_delay_alu instid0(VALU_DEP_2) | instskip(NEXT) | instid1(VALU_DEP_2)
	v_cmp_le_u32_e32 vcc_lo, s65, v0
	v_cndmask_b32_e32 v0, v4, v8, vcc_lo
	s_delay_alu instid0(VALU_DEP_1) | instskip(NEXT) | instid1(VALU_DEP_1)
	v_xor_b32_e32 v0, v0, v5
	v_sub_nc_u32_e32 v12, v0, v5
	s_delay_alu instid0(VALU_DEP_1) | instskip(NEXT) | instid1(VALU_DEP_1)
	v_sub_nc_u32_e32 v0, 0, v12
	v_max_i32_e32 v0, v12, v0
	s_delay_alu instid0(VALU_DEP_1) | instskip(NEXT) | instid1(VALU_DEP_1)
	v_mul_u64_e32 v[4:5], s[58:59], v[0:1]
	v_mul_lo_u32 v4, v5, s36
	s_delay_alu instid0(VALU_DEP_1) | instskip(NEXT) | instid1(VALU_DEP_1)
	v_dual_sub_nc_u32 v0, v0, v4 :: v_dual_add_nc_u32 v4, 1, v5
	v_subrev_nc_u32_e32 v8, s36, v0
	v_cmp_le_u32_e32 vcc_lo, s36, v0
	s_delay_alu instid0(VALU_DEP_3) | instskip(SKIP_1) | instid1(VALU_DEP_1)
	v_cndmask_b32_e32 v4, v5, v4, vcc_lo
	v_ashrrev_i32_e32 v5, 31, v12
	v_dual_cndmask_b32 v0, v0, v8, vcc_lo :: v_dual_bitop2_b32 v5, s3, v5 bitop3:0x14
	s_delay_alu instid0(VALU_DEP_3) | instskip(NEXT) | instid1(VALU_DEP_2)
	v_add_nc_u32_e32 v8, 1, v4
	v_cmp_le_u32_e32 vcc_lo, s36, v0
	s_delay_alu instid0(VALU_DEP_2) | instskip(SKIP_2) | instid1(VALU_DEP_2)
	v_cndmask_b32_e32 v0, v4, v8, vcc_lo
	v_mul_lo_u32 v4, v7, s11
	s_and_not1_b32 vcc_lo, exec_lo, s4
	v_xor_b32_e32 v0, v0, v5
	s_delay_alu instid0(VALU_DEP_1) | instskip(SKIP_2) | instid1(VALU_DEP_2)
	v_sub_nc_u32_e32 v11, v0, v5
	v_mul_lo_u32 v0, v6, s28
	v_mul_lo_u32 v5, v12, s10
	v_sub_nc_u32_e32 v8, v2, v0
	s_delay_alu instid0(VALU_DEP_4) | instskip(NEXT) | instid1(VALU_DEP_3)
	v_mul_lo_u32 v13, v11, s9
	v_dual_sub_nc_u32 v9, v6, v4 :: v_dual_sub_nc_u32 v10, v7, v5
	s_delay_alu instid0(VALU_DEP_2)
	v_sub_nc_u32_e32 v12, v12, v13
	s_cbranch_vccnz .LBB7_14
; %bb.4:                                ;   in Loop: Header=BB7_3 Depth=1
	s_delay_alu instid0(VALU_DEP_1) | instskip(NEXT) | instid1(VALU_DEP_3)
	v_sub_nc_u32_e32 v0, 0, v12
	v_mul_lo_u32 v7, v9, s17
	v_mul_lo_u32 v15, v8, s18
	;; [unrolled: 1-line block ×3, first 2 shown]
	s_mov_b32 s72, 0
	v_max_i32_e32 v0, v12, v0
	s_delay_alu instid0(VALU_DEP_1) | instskip(SKIP_3) | instid1(VALU_DEP_2)
	v_mul_u64_e32 v[4:5], s[60:61], v[0:1]
	v_subrev_nc_u32_e32 v14, s40, v7
	v_subrev_nc_u32_e32 v15, s41, v15
	s_wait_kmcnt 0x0
	v_mul_lo_u32 v18, s23, v14
	s_delay_alu instid0(VALU_DEP_2) | instskip(NEXT) | instid1(VALU_DEP_2)
	v_mul_lo_u32 v22, s63, v15
	v_dual_ashrrev_i32 v21, 31, v20 :: v_dual_ashrrev_i32 v19, 31, v18
	s_delay_alu instid0(VALU_DEP_2) | instskip(SKIP_1) | instid1(VALU_DEP_1)
	v_ashrrev_i32_e32 v23, 31, v22
	v_mul_lo_u32 v4, v5, s68
	v_dual_sub_nc_u32 v0, v0, v4 :: v_dual_add_nc_u32 v4, 1, v5
	s_delay_alu instid0(VALU_DEP_1) | instskip(NEXT) | instid1(VALU_DEP_2)
	v_cmp_le_u32_e32 vcc_lo, s68, v0
	v_cndmask_b32_e32 v4, v5, v4, vcc_lo
	v_subrev_nc_u32_e32 v6, s68, v0
	s_delay_alu instid0(VALU_DEP_1) | instskip(NEXT) | instid1(VALU_DEP_1)
	v_dual_cndmask_b32 v0, v0, v6 :: v_dual_ashrrev_i32 v5, 31, v12
	v_dual_add_nc_u32 v6, 1, v4 :: v_dual_bitop2_b32 v5, s70, v5 bitop3:0x14
	s_delay_alu instid0(VALU_DEP_2) | instskip(NEXT) | instid1(VALU_DEP_2)
	v_cmp_le_u32_e32 vcc_lo, s68, v0
	v_cndmask_b32_e32 v0, v4, v6, vcc_lo
	v_mul_lo_u32 v6, v10, s16
	v_mul_lo_u32 v4, s20, v11
	s_delay_alu instid0(VALU_DEP_2) | instskip(NEXT) | instid1(VALU_DEP_1)
	v_subrev_nc_u32_e32 v13, s19, v6
	v_mul_lo_u32 v16, s22, v13
	s_delay_alu instid0(VALU_DEP_1) | instskip(NEXT) | instid1(VALU_DEP_1)
	v_dual_ashrrev_i32 v17, 31, v16 :: v_dual_bitop2_b32 v0, v0, v5 bitop3:0x14
	v_dual_sub_nc_u32 v0, v0, v5 :: v_dual_ashrrev_i32 v5, 31, v4
	s_delay_alu instid0(VALU_DEP_1) | instskip(NEXT) | instid1(VALU_DEP_2)
	v_mul_lo_u32 v6, s21, v0
	v_lshl_add_u64 v[4:5], v[4:5], 1, s[46:47]
	s_delay_alu instid0(VALU_DEP_2) | instskip(NEXT) | instid1(VALU_DEP_1)
	v_dual_mov_b32 v0, 0 :: v_dual_ashrrev_i32 v7, 31, v6
	v_lshl_add_u64 v[4:5], v[6:7], 1, v[4:5]
	s_delay_alu instid0(VALU_DEP_1) | instskip(NEXT) | instid1(VALU_DEP_1)
	v_lshl_add_u64 v[4:5], v[16:17], 1, v[4:5]
	v_lshl_add_u64 v[6:7], v[18:19], 1, v[4:5]
	;; [unrolled: 1-line block ×3, first 2 shown]
	s_delay_alu instid0(VALU_DEP_2)
	v_lshl_add_u64 v[6:7], v[22:23], 1, v[6:7]
	s_branch .LBB7_6
.LBB7_5:                                ;   in Loop: Header=BB7_6 Depth=2
	s_delay_alu instid0(VALU_DEP_1) | instskip(SKIP_1) | instid1(SALU_CYCLE_1)
	v_lshl_add_u64 v[6:7], s[44:45], 1, v[6:7]
	s_add_co_i32 s72, s72, 1
	s_cmp_eq_u32 s72, s12
	s_cbranch_scc1 .LBB7_15
.LBB7_6:                                ;   Parent Loop BB7_3 Depth=1
                                        ; =>  This Loop Header: Depth=2
                                        ;       Child Loop BB7_9 Depth 3
                                        ;         Child Loop BB7_12 Depth 4
	s_and_not1_b32 vcc_lo, exec_lo, s8
	s_cbranch_vccnz .LBB7_5
; %bb.7:                                ;   in Loop: Header=BB7_6 Depth=2
	v_add_nc_u32_e32 v16, s72, v13
	s_mov_b32 s73, 0
	s_delay_alu instid0(VALU_DEP_1)
	v_cmp_lt_i32_e64 s0, -1, v16
	v_cmp_gt_i32_e64 s1, s5, v16
	s_branch .LBB7_9
.LBB7_8:                                ;   in Loop: Header=BB7_9 Depth=3
	s_delay_alu instid0(VALU_DEP_2) | instskip(SKIP_1) | instid1(SALU_CYCLE_1)
	v_lshl_add_u64 v[6:7], s[42:43], 1, v[6:7]
	s_add_co_i32 s73, s73, 1
	s_cmp_eq_u32 s73, s13
	s_cbranch_scc1 .LBB7_5
.LBB7_9:                                ;   Parent Loop BB7_3 Depth=1
                                        ;     Parent Loop BB7_6 Depth=2
                                        ; =>    This Loop Header: Depth=3
                                        ;         Child Loop BB7_12 Depth 4
	s_and_not1_b32 vcc_lo, exec_lo, s33
	s_cbranch_vccnz .LBB7_8
; %bb.10:                               ;   in Loop: Header=BB7_9 Depth=3
	v_dual_mov_b32 v16, v15 :: v_dual_add_nc_u32 v17, s73, v14
	s_mov_b32 s75, s14
	s_delay_alu instid0(VALU_DEP_1)
	v_cmp_lt_i32_e64 s2, -1, v17
	v_cmp_gt_i32_e32 vcc_lo, s6, v17
	s_and_b32 s74, s0, s2
	s_branch .LBB7_12
.LBB7_11:                               ;   in Loop: Header=BB7_12 Depth=4
	s_wait_xcnt 0x0
	s_or_b32 exec_lo, exec_lo, s2
	v_add_nc_u64_e32 v[4:5], 2, v[4:5]
	v_add_nc_u64_e32 v[6:7], 2, v[6:7]
	v_add_nc_u32_e32 v16, 1, v16
	s_add_co_i32 s75, s75, -1
	s_delay_alu instid0(SALU_CYCLE_1)
	s_cmp_eq_u32 s75, 0
	s_cbranch_scc1 .LBB7_8
.LBB7_12:                               ;   Parent Loop BB7_3 Depth=1
                                        ;     Parent Loop BB7_6 Depth=2
                                        ;       Parent Loop BB7_9 Depth=3
                                        ; =>      This Inner Loop Header: Depth=4
	s_delay_alu instid0(VALU_DEP_1) | instskip(SKIP_3) | instid1(SALU_CYCLE_1)
	v_cmp_lt_i32_e64 s2, -1, v16
	s_and_b32 s76, s74, s2
	v_cmp_gt_i32_e64 s2, s7, v16
	s_and_b32 s76, s76, s1
	s_and_b32 s76, s76, vcc_lo
	s_delay_alu instid0(SALU_CYCLE_1) | instskip(NEXT) | instid1(SALU_CYCLE_1)
	s_and_b32 s76, s76, s2
	s_and_saveexec_b32 s2, s76
	s_cbranch_execz .LBB7_11
; %bb.13:                               ;   in Loop: Header=BB7_12 Depth=4
	global_load_u16 v17, v[4:5], off
	global_load_u16 v18, v[6:7], off
	s_wait_loadcnt 0x0
	v_fma_mix_f32 v0, v17, v18, v0 op_sel_hi:[1,1,0]
	s_branch .LBB7_11
.LBB7_14:                               ;   in Loop: Header=BB7_3 Depth=1
	v_mov_b32_e32 v0, 0
.LBB7_15:                               ;   in Loop: Header=BB7_3 Depth=1
	s_and_b32 vcc_lo, exec_lo, s37
	s_cbranch_vccz .LBB7_2
; %bb.16:                               ;   in Loop: Header=BB7_3 Depth=1
	global_load_u16 v4, v12, s[38:39] scale_offset
	s_wait_loadcnt 0x0
	v_cvt_f32_f16_e32 v4, v4
	s_delay_alu instid0(VALU_DEP_1)
	v_add_f32_e32 v0, v0, v4
	s_branch .LBB7_2
.LBB7_17:
	s_endpgm
	.section	.rodata,"a",@progbits
	.p2align	6, 0x0
	.amdhsa_kernel _ZN2at6native12_GLOBAL__N_128conv_depthwise3d_cuda_kernelIN3c104HalfEfLin1ELin1ELin1ELi1ELi1ELi1EEEvN5torch10headeronly6detail27GenericPackedTensorAccessorINS7_14TensorAccessorINS3_8ArrayRefIlEEKT_Lm4ENS6_16DefaultPtrTraitsEiEENS_6detail16IndexBoundsCheckILm5EiEESD_Lm5ESE_iEENS8_INS9_ISB_SC_Lm4ESE_iEESI_SC_Lm5ESE_iEESJ_PSD_iiiiiiiii
		.amdhsa_group_segment_fixed_size 0
		.amdhsa_private_segment_fixed_size 0
		.amdhsa_kernarg_size 448
		.amdhsa_user_sgpr_count 2
		.amdhsa_user_sgpr_dispatch_ptr 0
		.amdhsa_user_sgpr_queue_ptr 0
		.amdhsa_user_sgpr_kernarg_segment_ptr 1
		.amdhsa_user_sgpr_dispatch_id 0
		.amdhsa_user_sgpr_kernarg_preload_length 0
		.amdhsa_user_sgpr_kernarg_preload_offset 0
		.amdhsa_user_sgpr_private_segment_size 0
		.amdhsa_wavefront_size32 1
		.amdhsa_uses_dynamic_stack 0
		.amdhsa_enable_private_segment 0
		.amdhsa_system_sgpr_workgroup_id_x 1
		.amdhsa_system_sgpr_workgroup_id_y 0
		.amdhsa_system_sgpr_workgroup_id_z 0
		.amdhsa_system_sgpr_workgroup_info 0
		.amdhsa_system_vgpr_workitem_id 0
		.amdhsa_next_free_vgpr 24
		.amdhsa_next_free_sgpr 77
		.amdhsa_named_barrier_count 0
		.amdhsa_reserve_vcc 1
		.amdhsa_float_round_mode_32 0
		.amdhsa_float_round_mode_16_64 0
		.amdhsa_float_denorm_mode_32 3
		.amdhsa_float_denorm_mode_16_64 3
		.amdhsa_fp16_overflow 0
		.amdhsa_memory_ordered 1
		.amdhsa_forward_progress 1
		.amdhsa_inst_pref_size 16
		.amdhsa_round_robin_scheduling 0
		.amdhsa_exception_fp_ieee_invalid_op 0
		.amdhsa_exception_fp_denorm_src 0
		.amdhsa_exception_fp_ieee_div_zero 0
		.amdhsa_exception_fp_ieee_overflow 0
		.amdhsa_exception_fp_ieee_underflow 0
		.amdhsa_exception_fp_ieee_inexact 0
		.amdhsa_exception_int_div_zero 0
	.end_amdhsa_kernel
	.section	.text._ZN2at6native12_GLOBAL__N_128conv_depthwise3d_cuda_kernelIN3c104HalfEfLin1ELin1ELin1ELi1ELi1ELi1EEEvN5torch10headeronly6detail27GenericPackedTensorAccessorINS7_14TensorAccessorINS3_8ArrayRefIlEEKT_Lm4ENS6_16DefaultPtrTraitsEiEENS_6detail16IndexBoundsCheckILm5EiEESD_Lm5ESE_iEENS8_INS9_ISB_SC_Lm4ESE_iEESI_SC_Lm5ESE_iEESJ_PSD_iiiiiiiii,"axG",@progbits,_ZN2at6native12_GLOBAL__N_128conv_depthwise3d_cuda_kernelIN3c104HalfEfLin1ELin1ELin1ELi1ELi1ELi1EEEvN5torch10headeronly6detail27GenericPackedTensorAccessorINS7_14TensorAccessorINS3_8ArrayRefIlEEKT_Lm4ENS6_16DefaultPtrTraitsEiEENS_6detail16IndexBoundsCheckILm5EiEESD_Lm5ESE_iEENS8_INS9_ISB_SC_Lm4ESE_iEESI_SC_Lm5ESE_iEESJ_PSD_iiiiiiiii,comdat
.Lfunc_end7:
	.size	_ZN2at6native12_GLOBAL__N_128conv_depthwise3d_cuda_kernelIN3c104HalfEfLin1ELin1ELin1ELi1ELi1ELi1EEEvN5torch10headeronly6detail27GenericPackedTensorAccessorINS7_14TensorAccessorINS3_8ArrayRefIlEEKT_Lm4ENS6_16DefaultPtrTraitsEiEENS_6detail16IndexBoundsCheckILm5EiEESD_Lm5ESE_iEENS8_INS9_ISB_SC_Lm4ESE_iEESI_SC_Lm5ESE_iEESJ_PSD_iiiiiiiii, .Lfunc_end7-_ZN2at6native12_GLOBAL__N_128conv_depthwise3d_cuda_kernelIN3c104HalfEfLin1ELin1ELin1ELi1ELi1ELi1EEEvN5torch10headeronly6detail27GenericPackedTensorAccessorINS7_14TensorAccessorINS3_8ArrayRefIlEEKT_Lm4ENS6_16DefaultPtrTraitsEiEENS_6detail16IndexBoundsCheckILm5EiEESD_Lm5ESE_iEENS8_INS9_ISB_SC_Lm4ESE_iEESI_SC_Lm5ESE_iEESJ_PSD_iiiiiiiii
                                        ; -- End function
	.set _ZN2at6native12_GLOBAL__N_128conv_depthwise3d_cuda_kernelIN3c104HalfEfLin1ELin1ELin1ELi1ELi1ELi1EEEvN5torch10headeronly6detail27GenericPackedTensorAccessorINS7_14TensorAccessorINS3_8ArrayRefIlEEKT_Lm4ENS6_16DefaultPtrTraitsEiEENS_6detail16IndexBoundsCheckILm5EiEESD_Lm5ESE_iEENS8_INS9_ISB_SC_Lm4ESE_iEESI_SC_Lm5ESE_iEESJ_PSD_iiiiiiiii.num_vgpr, 24
	.set _ZN2at6native12_GLOBAL__N_128conv_depthwise3d_cuda_kernelIN3c104HalfEfLin1ELin1ELin1ELi1ELi1ELi1EEEvN5torch10headeronly6detail27GenericPackedTensorAccessorINS7_14TensorAccessorINS3_8ArrayRefIlEEKT_Lm4ENS6_16DefaultPtrTraitsEiEENS_6detail16IndexBoundsCheckILm5EiEESD_Lm5ESE_iEENS8_INS9_ISB_SC_Lm4ESE_iEESI_SC_Lm5ESE_iEESJ_PSD_iiiiiiiii.num_agpr, 0
	.set _ZN2at6native12_GLOBAL__N_128conv_depthwise3d_cuda_kernelIN3c104HalfEfLin1ELin1ELin1ELi1ELi1ELi1EEEvN5torch10headeronly6detail27GenericPackedTensorAccessorINS7_14TensorAccessorINS3_8ArrayRefIlEEKT_Lm4ENS6_16DefaultPtrTraitsEiEENS_6detail16IndexBoundsCheckILm5EiEESD_Lm5ESE_iEENS8_INS9_ISB_SC_Lm4ESE_iEESI_SC_Lm5ESE_iEESJ_PSD_iiiiiiiii.numbered_sgpr, 77
	.set _ZN2at6native12_GLOBAL__N_128conv_depthwise3d_cuda_kernelIN3c104HalfEfLin1ELin1ELin1ELi1ELi1ELi1EEEvN5torch10headeronly6detail27GenericPackedTensorAccessorINS7_14TensorAccessorINS3_8ArrayRefIlEEKT_Lm4ENS6_16DefaultPtrTraitsEiEENS_6detail16IndexBoundsCheckILm5EiEESD_Lm5ESE_iEENS8_INS9_ISB_SC_Lm4ESE_iEESI_SC_Lm5ESE_iEESJ_PSD_iiiiiiiii.num_named_barrier, 0
	.set _ZN2at6native12_GLOBAL__N_128conv_depthwise3d_cuda_kernelIN3c104HalfEfLin1ELin1ELin1ELi1ELi1ELi1EEEvN5torch10headeronly6detail27GenericPackedTensorAccessorINS7_14TensorAccessorINS3_8ArrayRefIlEEKT_Lm4ENS6_16DefaultPtrTraitsEiEENS_6detail16IndexBoundsCheckILm5EiEESD_Lm5ESE_iEENS8_INS9_ISB_SC_Lm4ESE_iEESI_SC_Lm5ESE_iEESJ_PSD_iiiiiiiii.private_seg_size, 0
	.set _ZN2at6native12_GLOBAL__N_128conv_depthwise3d_cuda_kernelIN3c104HalfEfLin1ELin1ELin1ELi1ELi1ELi1EEEvN5torch10headeronly6detail27GenericPackedTensorAccessorINS7_14TensorAccessorINS3_8ArrayRefIlEEKT_Lm4ENS6_16DefaultPtrTraitsEiEENS_6detail16IndexBoundsCheckILm5EiEESD_Lm5ESE_iEENS8_INS9_ISB_SC_Lm4ESE_iEESI_SC_Lm5ESE_iEESJ_PSD_iiiiiiiii.uses_vcc, 1
	.set _ZN2at6native12_GLOBAL__N_128conv_depthwise3d_cuda_kernelIN3c104HalfEfLin1ELin1ELin1ELi1ELi1ELi1EEEvN5torch10headeronly6detail27GenericPackedTensorAccessorINS7_14TensorAccessorINS3_8ArrayRefIlEEKT_Lm4ENS6_16DefaultPtrTraitsEiEENS_6detail16IndexBoundsCheckILm5EiEESD_Lm5ESE_iEENS8_INS9_ISB_SC_Lm4ESE_iEESI_SC_Lm5ESE_iEESJ_PSD_iiiiiiiii.uses_flat_scratch, 0
	.set _ZN2at6native12_GLOBAL__N_128conv_depthwise3d_cuda_kernelIN3c104HalfEfLin1ELin1ELin1ELi1ELi1ELi1EEEvN5torch10headeronly6detail27GenericPackedTensorAccessorINS7_14TensorAccessorINS3_8ArrayRefIlEEKT_Lm4ENS6_16DefaultPtrTraitsEiEENS_6detail16IndexBoundsCheckILm5EiEESD_Lm5ESE_iEENS8_INS9_ISB_SC_Lm4ESE_iEESI_SC_Lm5ESE_iEESJ_PSD_iiiiiiiii.has_dyn_sized_stack, 0
	.set _ZN2at6native12_GLOBAL__N_128conv_depthwise3d_cuda_kernelIN3c104HalfEfLin1ELin1ELin1ELi1ELi1ELi1EEEvN5torch10headeronly6detail27GenericPackedTensorAccessorINS7_14TensorAccessorINS3_8ArrayRefIlEEKT_Lm4ENS6_16DefaultPtrTraitsEiEENS_6detail16IndexBoundsCheckILm5EiEESD_Lm5ESE_iEENS8_INS9_ISB_SC_Lm4ESE_iEESI_SC_Lm5ESE_iEESJ_PSD_iiiiiiiii.has_recursion, 0
	.set _ZN2at6native12_GLOBAL__N_128conv_depthwise3d_cuda_kernelIN3c104HalfEfLin1ELin1ELin1ELi1ELi1ELi1EEEvN5torch10headeronly6detail27GenericPackedTensorAccessorINS7_14TensorAccessorINS3_8ArrayRefIlEEKT_Lm4ENS6_16DefaultPtrTraitsEiEENS_6detail16IndexBoundsCheckILm5EiEESD_Lm5ESE_iEENS8_INS9_ISB_SC_Lm4ESE_iEESI_SC_Lm5ESE_iEESJ_PSD_iiiiiiiii.has_indirect_call, 0
	.section	.AMDGPU.csdata,"",@progbits
; Kernel info:
; codeLenInByte = 2000
; TotalNumSgprs: 79
; NumVgprs: 24
; ScratchSize: 0
; MemoryBound: 0
; FloatMode: 240
; IeeeMode: 1
; LDSByteSize: 0 bytes/workgroup (compile time only)
; SGPRBlocks: 0
; VGPRBlocks: 1
; NumSGPRsForWavesPerEU: 79
; NumVGPRsForWavesPerEU: 24
; NamedBarCnt: 0
; Occupancy: 16
; WaveLimiterHint : 0
; COMPUTE_PGM_RSRC2:SCRATCH_EN: 0
; COMPUTE_PGM_RSRC2:USER_SGPR: 2
; COMPUTE_PGM_RSRC2:TRAP_HANDLER: 0
; COMPUTE_PGM_RSRC2:TGID_X_EN: 1
; COMPUTE_PGM_RSRC2:TGID_Y_EN: 0
; COMPUTE_PGM_RSRC2:TGID_Z_EN: 0
; COMPUTE_PGM_RSRC2:TIDIG_COMP_CNT: 0
	.section	.text._ZN2at6native12_GLOBAL__N_128conv_depthwise3d_cuda_kernelIN3c104HalfEfLin1ELin1ELin1ELin1ELin1ELin1EEEvN5torch10headeronly6detail27GenericPackedTensorAccessorINS7_14TensorAccessorINS3_8ArrayRefIlEEKT_Lm4ENS6_16DefaultPtrTraitsEiEENS_6detail16IndexBoundsCheckILm5EiEESD_Lm5ESE_iEENS8_INS9_ISB_SC_Lm4ESE_iEESI_SC_Lm5ESE_iEESJ_PSD_iiiiiiiii,"axG",@progbits,_ZN2at6native12_GLOBAL__N_128conv_depthwise3d_cuda_kernelIN3c104HalfEfLin1ELin1ELin1ELin1ELin1ELin1EEEvN5torch10headeronly6detail27GenericPackedTensorAccessorINS7_14TensorAccessorINS3_8ArrayRefIlEEKT_Lm4ENS6_16DefaultPtrTraitsEiEENS_6detail16IndexBoundsCheckILm5EiEESD_Lm5ESE_iEENS8_INS9_ISB_SC_Lm4ESE_iEESI_SC_Lm5ESE_iEESJ_PSD_iiiiiiiii,comdat
	.globl	_ZN2at6native12_GLOBAL__N_128conv_depthwise3d_cuda_kernelIN3c104HalfEfLin1ELin1ELin1ELin1ELin1ELin1EEEvN5torch10headeronly6detail27GenericPackedTensorAccessorINS7_14TensorAccessorINS3_8ArrayRefIlEEKT_Lm4ENS6_16DefaultPtrTraitsEiEENS_6detail16IndexBoundsCheckILm5EiEESD_Lm5ESE_iEENS8_INS9_ISB_SC_Lm4ESE_iEESI_SC_Lm5ESE_iEESJ_PSD_iiiiiiiii ; -- Begin function _ZN2at6native12_GLOBAL__N_128conv_depthwise3d_cuda_kernelIN3c104HalfEfLin1ELin1ELin1ELin1ELin1ELin1EEEvN5torch10headeronly6detail27GenericPackedTensorAccessorINS7_14TensorAccessorINS3_8ArrayRefIlEEKT_Lm4ENS6_16DefaultPtrTraitsEiEENS_6detail16IndexBoundsCheckILm5EiEESD_Lm5ESE_iEENS8_INS9_ISB_SC_Lm4ESE_iEESI_SC_Lm5ESE_iEESJ_PSD_iiiiiiiii
	.p2align	8
	.type	_ZN2at6native12_GLOBAL__N_128conv_depthwise3d_cuda_kernelIN3c104HalfEfLin1ELin1ELin1ELin1ELin1ELin1EEEvN5torch10headeronly6detail27GenericPackedTensorAccessorINS7_14TensorAccessorINS3_8ArrayRefIlEEKT_Lm4ENS6_16DefaultPtrTraitsEiEENS_6detail16IndexBoundsCheckILm5EiEESD_Lm5ESE_iEENS8_INS9_ISB_SC_Lm4ESE_iEESI_SC_Lm5ESE_iEESJ_PSD_iiiiiiiii,@function
_ZN2at6native12_GLOBAL__N_128conv_depthwise3d_cuda_kernelIN3c104HalfEfLin1ELin1ELin1ELin1ELin1ELin1EEEvN5torch10headeronly6detail27GenericPackedTensorAccessorINS7_14TensorAccessorINS3_8ArrayRefIlEEKT_Lm4ENS6_16DefaultPtrTraitsEiEENS_6detail16IndexBoundsCheckILm5EiEESD_Lm5ESE_iEENS8_INS9_ISB_SC_Lm4ESE_iEESI_SC_Lm5ESE_iEESJ_PSD_iiiiiiiii: ; @_ZN2at6native12_GLOBAL__N_128conv_depthwise3d_cuda_kernelIN3c104HalfEfLin1ELin1ELin1ELin1ELin1ELin1EEEvN5torch10headeronly6detail27GenericPackedTensorAccessorINS7_14TensorAccessorINS3_8ArrayRefIlEEKT_Lm4ENS6_16DefaultPtrTraitsEiEENS_6detail16IndexBoundsCheckILm5EiEESD_Lm5ESE_iEENS8_INS9_ISB_SC_Lm4ESE_iEESI_SC_Lm5ESE_iEESJ_PSD_iiiiiiiii
; %bb.0:
	s_clause 0x2
	s_load_b128 s[12:15], s[0:1], 0xc
	s_load_b32 s2, s[0:1], 0xcc
	s_load_b64 s[34:35], s[0:1], 0x48
	s_bfe_u32 s3, ttmp6, 0x4000c
	s_load_b128 s[16:19], s[0:1], 0x38
	s_add_co_i32 s3, s3, 1
	s_and_b32 s4, ttmp6, 15
	s_mul_i32 s3, ttmp9, s3
	s_getreg_b32 s5, hwreg(HW_REG_IB_STS2, 6, 4)
	v_mov_b32_e32 v1, 0
	s_add_co_i32 s4, s4, s3
	s_mov_b32 s39, 0
	s_wait_kmcnt 0x0
	s_abs_i32 s24, s12
	s_and_b32 s2, s2, 0xffff
	s_cmp_eq_u32 s5, 0
	s_mul_i32 s36, s35, s16
	s_cselect_b32 s3, ttmp9, s4
	s_ashr_i32 s37, s36, 31
	v_mad_nc_u64_u32 v[2:3], s2, s3, v[0:1]
	s_cvt_f32_u32 s3, s24
	s_mov_b32 s4, exec_lo
	s_delay_alu instid0(SALU_CYCLE_2) | instskip(SKIP_1) | instid1(TRANS32_DEP_1)
	v_rcp_iflag_f32_e32 v0, s3
	v_nop
	v_readfirstlane_b32 s3, v0
	s_delay_alu instid0(VALU_DEP_3)
	v_cmpx_gt_i64_e64 s[36:37], v[2:3]
	s_cbranch_execz .LBB8_17
; %bb.1:
	s_mul_f32 s3, s3, 0x4f7ffffe
	s_sub_co_i32 s4, 0, s24
	s_abs_i32 s40, s17
	s_mov_b32 s41, s39
	s_cvt_u32_f32 s16, s3
	s_ashr_i32 s3, s17, 31
	s_ashr_i32 s12, s12, 31
	s_load_b32 s42, s[0:1], 0xb8
	s_mul_i32 s4, s4, s16
	s_xor_b32 s12, s3, s12
	s_mul_hi_u32 s20, s16, s4
	s_load_b256 s[4:11], s[0:1], 0x98
	s_add_co_i32 s38, s16, s20
	s_clause 0x1
	s_load_b128 s[20:23], s[0:1], 0x70
	s_load_b64 s[44:45], s[0:1], 0x90
	s_mul_u64 s[26:27], s[40:41], s[38:39]
	s_mov_b32 s59, s39
	s_mul_i32 s16, s27, s24
	s_add_co_i32 s25, s27, 1
	s_sub_co_i32 s16, s40, s16
	s_mov_b32 s65, s39
	s_sub_co_i32 s26, s16, s24
	s_cmp_ge_u32 s16, s24
	s_cselect_b32 s25, s25, s27
	s_cselect_b32 s16, s26, s16
	s_add_co_i32 s26, s25, 1
	s_cmp_ge_u32 s16, s24
	s_cselect_b32 s16, s26, s25
	s_add_nc_u64 s[24:25], s[0:1], 0xc0
	s_xor_b32 s16, s16, s12
	s_load_b32 s38, s[24:25], 0x0
	s_sub_co_i32 s64, s16, s12
	s_wait_kmcnt 0x0
	s_cmp_gt_i32 s20, 0
	s_mul_i32 s25, s14, s10
	s_cselect_b32 s12, -1, 0
	s_cmp_gt_i32 s21, 0
	s_mul_i32 s26, s21, s11
	s_cselect_b32 s16, -1, 0
	;; [unrolled: 3-line block ×3, first 2 shown]
	s_mul_i32 s27, s22, s42
	s_sub_co_i32 s25, s25, s26
	s_sub_co_i32 s46, s24, s27
	s_mul_i32 s48, s25, s15
	s_ashr_i32 s43, s42, 31
	s_ashr_i32 s47, s46, 31
	;; [unrolled: 1-line block ×3, first 2 shown]
	s_cmp_lg_u64 s[44:45], 0
	s_cselect_b32 s41, -1, 0
	s_abs_i32 s68, s34
	s_abs_i32 s69, s19
	s_cvt_f32_u32 s24, s68
	s_cvt_f32_u32 s28, s69
	s_abs_i32 s71, s18
	s_mul_i32 s38, s38, s2
	v_rcp_iflag_f32_e32 v0, s24
	v_rcp_iflag_f32_e32 v4, s28
	s_clause 0x5
	s_load_b64 s[50:51], s[0:1], 0x0
	s_load_b128 s[24:27], s[0:1], 0x1c
	s_load_b32 s70, s[0:1], 0x2c
	s_load_b64 s[52:53], s[0:1], 0x30
	s_load_b64 s[54:55], s[0:1], 0x60
	s_load_b128 s[28:31], s[0:1], 0x50
	s_cvt_f32_u32 s2, s71
	s_sub_co_i32 s57, 0, s68
	s_wait_xcnt 0x0
	s_cvt_f32_u32 s0, s40
	v_readfirstlane_b32 s56, v0
	v_rcp_iflag_f32_e32 v0, s2
	s_abs_i32 s73, s64
	s_sub_co_i32 s58, 0, s69
	s_sub_co_i32 s63, 0, s73
	s_mul_f32 s1, s56, 0x4f7ffffe
	v_readfirstlane_b32 s56, v4
	s_ashr_i32 s72, s34, 31
	s_ashr_i32 s74, s19, 31
	s_cvt_u32_f32 s1, s1
	s_ashr_i32 s75, s18, 31
	s_mul_f32 s2, s56, 0x4f7ffffe
	s_ashr_i32 s76, s64, 31
	s_mul_i32 s57, s57, s1
	s_lshl_b64 s[66:67], s[42:43], 1
	s_mul_hi_u32 s56, s1, s57
	s_cvt_u32_f32 s2, s2
	s_add_co_i32 s56, s1, s56
	v_readfirstlane_b32 s1, v0
	v_rcp_iflag_f32_e32 v0, s0
	s_mul_i32 s58, s58, s2
	s_mov_b32 s57, s39
	s_mul_hi_u32 s58, s2, s58
	s_mul_f32 s0, s1, 0x4f7ffffe
	s_cvt_f32_u32 s1, s73
	s_add_co_i32 s58, s2, s58
	s_sub_co_i32 s2, 0, s71
	s_cvt_u32_f32 s0, s0
	v_rcp_iflag_f32_e32 v4, s1
	v_nop
	v_readfirstlane_b32 s1, v0
	s_mov_b32 s43, s39
	s_mul_i32 s2, s2, s0
	s_delay_alu instid0(SALU_CYCLE_1)
	s_mul_hi_u32 s2, s0, s2
	s_mul_f32 s1, s1, 0x4f7ffffe
	v_readfirstlane_b32 s61, v4
	s_add_co_i32 s60, s0, s2
	s_sub_co_i32 s2, 0, s40
	s_cvt_u32_f32 s0, s1
	s_mul_f32 s1, s61, 0x4f7ffffe
	s_mov_b32 s61, s39
	s_delay_alu instid0(SALU_CYCLE_1) | instskip(NEXT) | instid1(SALU_CYCLE_1)
	s_mul_i32 s2, s2, s0
	s_cvt_u32_f32 s1, s1
	s_mul_hi_u32 s2, s0, s2
	s_delay_alu instid0(SALU_CYCLE_1) | instskip(NEXT) | instid1(SALU_CYCLE_1)
	s_add_co_i32 s62, s0, s2
	s_mul_i32 s0, s63, s1
	s_mov_b32 s63, s39
	s_mul_hi_u32 s0, s1, s0
	s_delay_alu instid0(SALU_CYCLE_1)
	s_add_co_i32 s64, s1, s0
	s_branch .LBB8_3
.LBB8_2:                                ;   in Loop: Header=BB8_3 Depth=1
	v_mul_lo_u32 v4, v11, s35
	s_wait_kmcnt 0x0
	v_mul_lo_u32 v6, s28, v12
	v_mul_lo_u32 v10, s29, v10
	s_wait_xcnt 0x0
	v_mul_lo_u32 v12, s30, v9
	v_mul_lo_u32 v8, s31, v8
	v_add_nc_u64_e32 v[2:3], s[38:39], v[2:3]
	v_cvt_f16_f32_e32 v0, v0
	v_dual_ashrrev_i32 v5, 31, v4 :: v_dual_ashrrev_i32 v7, 31, v6
	v_dual_ashrrev_i32 v11, 31, v10 :: v_dual_ashrrev_i32 v13, 31, v12
	v_ashrrev_i32_e32 v9, 31, v8
	s_delay_alu instid0(VALU_DEP_3) | instskip(SKIP_1) | instid1(VALU_DEP_2)
	v_lshl_add_u64 v[4:5], v[4:5], 1, s[52:53]
	v_cmp_le_i64_e32 vcc_lo, s[36:37], v[2:3]
	v_lshl_add_u64 v[4:5], v[6:7], 1, v[4:5]
	s_or_b32 s43, vcc_lo, s43
	s_delay_alu instid0(VALU_DEP_1) | instskip(NEXT) | instid1(VALU_DEP_1)
	v_lshl_add_u64 v[4:5], v[10:11], 1, v[4:5]
	v_lshl_add_u64 v[4:5], v[12:13], 1, v[4:5]
	s_delay_alu instid0(VALU_DEP_1)
	v_lshl_add_u64 v[4:5], v[8:9], 1, v[4:5]
	global_store_b16 v[4:5], v0, off
	s_wait_xcnt 0x0
	s_and_not1_b32 exec_lo, exec_lo, s43
	s_cbranch_execz .LBB8_17
.LBB8_3:                                ; =>This Loop Header: Depth=1
                                        ;     Child Loop BB8_6 Depth 2
                                        ;       Child Loop BB8_9 Depth 3
                                        ;         Child Loop BB8_12 Depth 4
	v_sub_nc_u32_e32 v0, 0, v2
	s_delay_alu instid0(VALU_DEP_1) | instskip(NEXT) | instid1(VALU_DEP_1)
	v_max_i32_e32 v0, v2, v0
	v_mul_u64_e32 v[4:5], s[56:57], v[0:1]
	s_delay_alu instid0(VALU_DEP_1) | instskip(NEXT) | instid1(VALU_DEP_1)
	v_mul_lo_u32 v4, v5, s68
	v_dual_sub_nc_u32 v0, v0, v4 :: v_dual_add_nc_u32 v4, 1, v5
	s_delay_alu instid0(VALU_DEP_1) | instskip(NEXT) | instid1(VALU_DEP_2)
	v_cmp_le_u32_e32 vcc_lo, s68, v0
	v_cndmask_b32_e32 v4, v5, v4, vcc_lo
	v_subrev_nc_u32_e32 v6, s68, v0
	v_ashrrev_i32_e32 v5, 31, v2
	s_delay_alu instid0(VALU_DEP_2) | instskip(NEXT) | instid1(VALU_DEP_1)
	v_dual_cndmask_b32 v0, v0, v6, vcc_lo :: v_dual_add_nc_u32 v6, 1, v4
	v_cmp_le_u32_e32 vcc_lo, s68, v0
	s_delay_alu instid0(VALU_DEP_2) | instskip(NEXT) | instid1(VALU_DEP_1)
	v_dual_cndmask_b32 v0, v4, v6, vcc_lo :: v_dual_bitop2_b32 v5, s72, v5 bitop3:0x14
	v_xor_b32_e32 v0, v0, v5
	s_delay_alu instid0(VALU_DEP_1) | instskip(NEXT) | instid1(VALU_DEP_1)
	v_sub_nc_u32_e32 v6, v0, v5
	v_sub_nc_u32_e32 v0, 0, v6
	s_delay_alu instid0(VALU_DEP_1) | instskip(NEXT) | instid1(VALU_DEP_1)
	v_max_i32_e32 v0, v6, v0
	v_mul_u64_e32 v[4:5], s[58:59], v[0:1]
	s_delay_alu instid0(VALU_DEP_1) | instskip(NEXT) | instid1(VALU_DEP_1)
	v_mul_lo_u32 v4, v5, s69
	v_dual_sub_nc_u32 v0, v0, v4 :: v_dual_add_nc_u32 v4, 1, v5
	s_delay_alu instid0(VALU_DEP_1) | instskip(SKIP_1) | instid1(VALU_DEP_2)
	v_subrev_nc_u32_e32 v7, s69, v0
	v_cmp_le_u32_e32 vcc_lo, s69, v0
	v_dual_cndmask_b32 v4, v5, v4, vcc_lo :: v_dual_cndmask_b32 v0, v0, v7, vcc_lo
	s_delay_alu instid0(VALU_DEP_1) | instskip(NEXT) | instid1(VALU_DEP_2)
	v_dual_ashrrev_i32 v5, 31, v6 :: v_dual_add_nc_u32 v7, 1, v4
	v_cmp_le_u32_e32 vcc_lo, s69, v0
	s_delay_alu instid0(VALU_DEP_2) | instskip(NEXT) | instid1(VALU_DEP_1)
	v_dual_cndmask_b32 v0, v4, v7, vcc_lo :: v_dual_bitop2_b32 v5, s74, v5 bitop3:0x14
	v_xor_b32_e32 v0, v0, v5
	s_delay_alu instid0(VALU_DEP_1) | instskip(NEXT) | instid1(VALU_DEP_1)
	v_sub_nc_u32_e32 v7, v0, v5
	v_sub_nc_u32_e32 v0, 0, v7
	s_delay_alu instid0(VALU_DEP_1) | instskip(NEXT) | instid1(VALU_DEP_1)
	v_max_i32_e32 v0, v7, v0
	v_mul_u64_e32 v[4:5], s[60:61], v[0:1]
	s_delay_alu instid0(VALU_DEP_1) | instskip(NEXT) | instid1(VALU_DEP_1)
	v_mul_lo_u32 v4, v5, s71
	v_dual_sub_nc_u32 v0, v0, v4 :: v_dual_add_nc_u32 v4, 1, v5
	s_delay_alu instid0(VALU_DEP_1) | instskip(SKIP_1) | instid1(VALU_DEP_3)
	v_subrev_nc_u32_e32 v8, s71, v0
	v_cmp_le_u32_e32 vcc_lo, s71, v0
	v_dual_cndmask_b32 v4, v5, v4 :: v_dual_ashrrev_i32 v5, 31, v7
	s_delay_alu instid0(VALU_DEP_1) | instskip(NEXT) | instid1(VALU_DEP_2)
	v_dual_cndmask_b32 v0, v0, v8, vcc_lo :: v_dual_bitop2_b32 v5, s75, v5 bitop3:0x14
	v_add_nc_u32_e32 v8, 1, v4
	s_delay_alu instid0(VALU_DEP_2) | instskip(NEXT) | instid1(VALU_DEP_2)
	v_cmp_le_u32_e32 vcc_lo, s71, v0
	v_cndmask_b32_e32 v0, v4, v8, vcc_lo
	s_delay_alu instid0(VALU_DEP_1) | instskip(NEXT) | instid1(VALU_DEP_1)
	v_xor_b32_e32 v0, v0, v5
	v_sub_nc_u32_e32 v12, v0, v5
	s_delay_alu instid0(VALU_DEP_1) | instskip(NEXT) | instid1(VALU_DEP_1)
	v_sub_nc_u32_e32 v0, 0, v12
	v_max_i32_e32 v0, v12, v0
	s_delay_alu instid0(VALU_DEP_1) | instskip(NEXT) | instid1(VALU_DEP_1)
	v_mul_u64_e32 v[4:5], s[62:63], v[0:1]
	v_mul_lo_u32 v4, v5, s40
	s_delay_alu instid0(VALU_DEP_1) | instskip(NEXT) | instid1(VALU_DEP_1)
	v_dual_sub_nc_u32 v0, v0, v4 :: v_dual_add_nc_u32 v4, 1, v5
	v_subrev_nc_u32_e32 v8, s40, v0
	v_cmp_le_u32_e32 vcc_lo, s40, v0
	s_delay_alu instid0(VALU_DEP_3) | instskip(SKIP_1) | instid1(VALU_DEP_1)
	v_cndmask_b32_e32 v4, v5, v4, vcc_lo
	v_ashrrev_i32_e32 v5, 31, v12
	v_dual_cndmask_b32 v0, v0, v8, vcc_lo :: v_dual_bitop2_b32 v5, s3, v5 bitop3:0x14
	s_delay_alu instid0(VALU_DEP_3) | instskip(NEXT) | instid1(VALU_DEP_2)
	v_add_nc_u32_e32 v8, 1, v4
	v_cmp_le_u32_e32 vcc_lo, s40, v0
	s_delay_alu instid0(VALU_DEP_2) | instskip(SKIP_2) | instid1(VALU_DEP_2)
	v_cndmask_b32_e32 v0, v4, v8, vcc_lo
	v_mul_lo_u32 v4, v7, s19
	s_and_not1_b32 vcc_lo, exec_lo, s12
	v_xor_b32_e32 v0, v0, v5
	s_delay_alu instid0(VALU_DEP_1) | instskip(SKIP_2) | instid1(VALU_DEP_2)
	v_sub_nc_u32_e32 v11, v0, v5
	v_mul_lo_u32 v0, v6, s34
	v_mul_lo_u32 v5, v12, s18
	v_sub_nc_u32_e32 v8, v2, v0
	s_delay_alu instid0(VALU_DEP_4) | instskip(NEXT) | instid1(VALU_DEP_3)
	v_mul_lo_u32 v13, v11, s17
	v_dual_sub_nc_u32 v9, v6, v4 :: v_dual_sub_nc_u32 v10, v7, v5
	s_delay_alu instid0(VALU_DEP_2)
	v_sub_nc_u32_e32 v12, v12, v13
	s_cbranch_vccnz .LBB8_14
; %bb.4:                                ;   in Loop: Header=BB8_3 Depth=1
	s_delay_alu instid0(VALU_DEP_1) | instskip(NEXT) | instid1(VALU_DEP_3)
	v_sub_nc_u32_e32 v0, 0, v12
	v_mul_lo_u32 v7, v9, s5
	v_mul_lo_u32 v15, v8, s6
	;; [unrolled: 1-line block ×3, first 2 shown]
	s_mov_b32 s77, 0
	v_max_i32_e32 v0, v12, v0
	s_delay_alu instid0(VALU_DEP_1) | instskip(SKIP_3) | instid1(VALU_DEP_2)
	v_mul_u64_e32 v[4:5], s[64:65], v[0:1]
	v_subrev_nc_u32_e32 v14, s8, v7
	v_subrev_nc_u32_e32 v15, s9, v15
	s_wait_kmcnt 0x0
	v_mul_lo_u32 v18, s27, v14
	s_delay_alu instid0(VALU_DEP_2) | instskip(NEXT) | instid1(VALU_DEP_2)
	v_mul_lo_u32 v22, s70, v15
	v_dual_ashrrev_i32 v21, 31, v20 :: v_dual_ashrrev_i32 v19, 31, v18
	s_delay_alu instid0(VALU_DEP_2) | instskip(SKIP_1) | instid1(VALU_DEP_1)
	v_ashrrev_i32_e32 v23, 31, v22
	v_mul_lo_u32 v4, v5, s73
	v_dual_sub_nc_u32 v0, v0, v4 :: v_dual_add_nc_u32 v4, 1, v5
	s_delay_alu instid0(VALU_DEP_1) | instskip(NEXT) | instid1(VALU_DEP_2)
	v_cmp_le_u32_e32 vcc_lo, s73, v0
	v_cndmask_b32_e32 v4, v5, v4, vcc_lo
	v_subrev_nc_u32_e32 v6, s73, v0
	s_delay_alu instid0(VALU_DEP_1) | instskip(NEXT) | instid1(VALU_DEP_1)
	v_dual_cndmask_b32 v0, v0, v6 :: v_dual_ashrrev_i32 v5, 31, v12
	v_dual_add_nc_u32 v6, 1, v4 :: v_dual_bitop2_b32 v5, s76, v5 bitop3:0x14
	s_delay_alu instid0(VALU_DEP_2) | instskip(NEXT) | instid1(VALU_DEP_2)
	v_cmp_le_u32_e32 vcc_lo, s73, v0
	v_cndmask_b32_e32 v0, v4, v6, vcc_lo
	v_mul_lo_u32 v6, v10, s4
	v_mul_lo_u32 v4, s24, v11
	s_delay_alu instid0(VALU_DEP_2) | instskip(NEXT) | instid1(VALU_DEP_1)
	v_subrev_nc_u32_e32 v13, s7, v6
	v_mul_lo_u32 v16, s26, v13
	s_delay_alu instid0(VALU_DEP_1) | instskip(NEXT) | instid1(VALU_DEP_1)
	v_dual_ashrrev_i32 v17, 31, v16 :: v_dual_bitop2_b32 v0, v0, v5 bitop3:0x14
	v_dual_sub_nc_u32 v0, v0, v5 :: v_dual_ashrrev_i32 v5, 31, v4
	s_delay_alu instid0(VALU_DEP_1) | instskip(NEXT) | instid1(VALU_DEP_2)
	v_mul_lo_u32 v6, s25, v0
	v_lshl_add_u64 v[4:5], v[4:5], 1, s[50:51]
	s_delay_alu instid0(VALU_DEP_2) | instskip(NEXT) | instid1(VALU_DEP_1)
	v_dual_mov_b32 v0, 0 :: v_dual_ashrrev_i32 v7, 31, v6
	v_lshl_add_u64 v[4:5], v[6:7], 1, v[4:5]
	s_delay_alu instid0(VALU_DEP_1) | instskip(NEXT) | instid1(VALU_DEP_1)
	v_lshl_add_u64 v[4:5], v[16:17], 1, v[4:5]
	v_lshl_add_u64 v[6:7], v[18:19], 1, v[4:5]
	;; [unrolled: 1-line block ×3, first 2 shown]
	s_delay_alu instid0(VALU_DEP_2)
	v_lshl_add_u64 v[6:7], v[22:23], 1, v[6:7]
	s_branch .LBB8_6
.LBB8_5:                                ;   in Loop: Header=BB8_6 Depth=2
	s_delay_alu instid0(VALU_DEP_1) | instskip(SKIP_1) | instid1(SALU_CYCLE_1)
	v_lshl_add_u64 v[6:7], s[48:49], 1, v[6:7]
	s_add_co_i32 s77, s77, 1
	s_cmp_eq_u32 s77, s20
	s_cbranch_scc1 .LBB8_15
.LBB8_6:                                ;   Parent Loop BB8_3 Depth=1
                                        ; =>  This Loop Header: Depth=2
                                        ;       Child Loop BB8_9 Depth 3
                                        ;         Child Loop BB8_12 Depth 4
	s_and_not1_b32 vcc_lo, exec_lo, s16
	s_cbranch_vccnz .LBB8_5
; %bb.7:                                ;   in Loop: Header=BB8_6 Depth=2
	v_mad_u32 v16, s77, s10, v13
	s_mov_b32 s78, 0
	s_delay_alu instid0(VALU_DEP_1)
	v_cmp_lt_i32_e64 s0, -1, v16
	v_cmp_gt_i32_e64 s1, s13, v16
	s_branch .LBB8_9
.LBB8_8:                                ;   in Loop: Header=BB8_9 Depth=3
	s_delay_alu instid0(VALU_DEP_2) | instskip(SKIP_1) | instid1(SALU_CYCLE_1)
	v_lshl_add_u64 v[6:7], s[46:47], 1, v[6:7]
	s_add_co_i32 s78, s78, 1
	s_cmp_eq_u32 s78, s21
	s_cbranch_scc1 .LBB8_5
.LBB8_9:                                ;   Parent Loop BB8_3 Depth=1
                                        ;     Parent Loop BB8_6 Depth=2
                                        ; =>    This Loop Header: Depth=3
                                        ;         Child Loop BB8_12 Depth 4
	s_and_not1_b32 vcc_lo, exec_lo, s33
	s_cbranch_vccnz .LBB8_8
; %bb.10:                               ;   in Loop: Header=BB8_9 Depth=3
	v_mad_u32 v17, s78, s11, v14
	v_mov_b32_e32 v16, v15
	s_mov_b32 s80, s22
	s_delay_alu instid0(VALU_DEP_2)
	v_cmp_lt_i32_e64 s2, -1, v17
	v_cmp_gt_i32_e32 vcc_lo, s14, v17
	s_and_b32 s79, s0, s2
	s_branch .LBB8_12
.LBB8_11:                               ;   in Loop: Header=BB8_12 Depth=4
	s_wait_xcnt 0x0
	s_or_b32 exec_lo, exec_lo, s2
	v_add_nc_u64_e32 v[4:5], 2, v[4:5]
	v_add_nc_u64_e32 v[6:7], s[66:67], v[6:7]
	v_add_nc_u32_e32 v16, s42, v16
	s_add_co_i32 s80, s80, -1
	s_delay_alu instid0(SALU_CYCLE_1)
	s_cmp_eq_u32 s80, 0
	s_cbranch_scc1 .LBB8_8
.LBB8_12:                               ;   Parent Loop BB8_3 Depth=1
                                        ;     Parent Loop BB8_6 Depth=2
                                        ;       Parent Loop BB8_9 Depth=3
                                        ; =>      This Inner Loop Header: Depth=4
	s_delay_alu instid0(VALU_DEP_1) | instskip(SKIP_3) | instid1(SALU_CYCLE_1)
	v_cmp_lt_i32_e64 s2, -1, v16
	s_and_b32 s81, s79, s2
	v_cmp_gt_i32_e64 s2, s15, v16
	s_and_b32 s81, s81, s1
	s_and_b32 s81, s81, vcc_lo
	s_delay_alu instid0(SALU_CYCLE_1) | instskip(NEXT) | instid1(SALU_CYCLE_1)
	s_and_b32 s81, s81, s2
	s_and_saveexec_b32 s2, s81
	s_cbranch_execz .LBB8_11
; %bb.13:                               ;   in Loop: Header=BB8_12 Depth=4
	global_load_u16 v17, v[4:5], off
	global_load_u16 v18, v[6:7], off
	s_wait_loadcnt 0x0
	v_fma_mix_f32 v0, v17, v18, v0 op_sel_hi:[1,1,0]
	s_branch .LBB8_11
.LBB8_14:                               ;   in Loop: Header=BB8_3 Depth=1
	v_mov_b32_e32 v0, 0
.LBB8_15:                               ;   in Loop: Header=BB8_3 Depth=1
	s_and_b32 vcc_lo, exec_lo, s41
	s_cbranch_vccz .LBB8_2
; %bb.16:                               ;   in Loop: Header=BB8_3 Depth=1
	global_load_u16 v4, v12, s[44:45] scale_offset
	s_wait_loadcnt 0x0
	v_cvt_f32_f16_e32 v4, v4
	s_delay_alu instid0(VALU_DEP_1)
	v_add_f32_e32 v0, v0, v4
	s_branch .LBB8_2
.LBB8_17:
	s_endpgm
	.section	.rodata,"a",@progbits
	.p2align	6, 0x0
	.amdhsa_kernel _ZN2at6native12_GLOBAL__N_128conv_depthwise3d_cuda_kernelIN3c104HalfEfLin1ELin1ELin1ELin1ELin1ELin1EEEvN5torch10headeronly6detail27GenericPackedTensorAccessorINS7_14TensorAccessorINS3_8ArrayRefIlEEKT_Lm4ENS6_16DefaultPtrTraitsEiEENS_6detail16IndexBoundsCheckILm5EiEESD_Lm5ESE_iEENS8_INS9_ISB_SC_Lm4ESE_iEESI_SC_Lm5ESE_iEESJ_PSD_iiiiiiiii
		.amdhsa_group_segment_fixed_size 0
		.amdhsa_private_segment_fixed_size 0
		.amdhsa_kernarg_size 448
		.amdhsa_user_sgpr_count 2
		.amdhsa_user_sgpr_dispatch_ptr 0
		.amdhsa_user_sgpr_queue_ptr 0
		.amdhsa_user_sgpr_kernarg_segment_ptr 1
		.amdhsa_user_sgpr_dispatch_id 0
		.amdhsa_user_sgpr_kernarg_preload_length 0
		.amdhsa_user_sgpr_kernarg_preload_offset 0
		.amdhsa_user_sgpr_private_segment_size 0
		.amdhsa_wavefront_size32 1
		.amdhsa_uses_dynamic_stack 0
		.amdhsa_enable_private_segment 0
		.amdhsa_system_sgpr_workgroup_id_x 1
		.amdhsa_system_sgpr_workgroup_id_y 0
		.amdhsa_system_sgpr_workgroup_id_z 0
		.amdhsa_system_sgpr_workgroup_info 0
		.amdhsa_system_vgpr_workitem_id 0
		.amdhsa_next_free_vgpr 24
		.amdhsa_next_free_sgpr 82
		.amdhsa_named_barrier_count 0
		.amdhsa_reserve_vcc 1
		.amdhsa_float_round_mode_32 0
		.amdhsa_float_round_mode_16_64 0
		.amdhsa_float_denorm_mode_32 3
		.amdhsa_float_denorm_mode_16_64 3
		.amdhsa_fp16_overflow 0
		.amdhsa_memory_ordered 1
		.amdhsa_forward_progress 1
		.amdhsa_inst_pref_size 16
		.amdhsa_round_robin_scheduling 0
		.amdhsa_exception_fp_ieee_invalid_op 0
		.amdhsa_exception_fp_denorm_src 0
		.amdhsa_exception_fp_ieee_div_zero 0
		.amdhsa_exception_fp_ieee_overflow 0
		.amdhsa_exception_fp_ieee_underflow 0
		.amdhsa_exception_fp_ieee_inexact 0
		.amdhsa_exception_int_div_zero 0
	.end_amdhsa_kernel
	.section	.text._ZN2at6native12_GLOBAL__N_128conv_depthwise3d_cuda_kernelIN3c104HalfEfLin1ELin1ELin1ELin1ELin1ELin1EEEvN5torch10headeronly6detail27GenericPackedTensorAccessorINS7_14TensorAccessorINS3_8ArrayRefIlEEKT_Lm4ENS6_16DefaultPtrTraitsEiEENS_6detail16IndexBoundsCheckILm5EiEESD_Lm5ESE_iEENS8_INS9_ISB_SC_Lm4ESE_iEESI_SC_Lm5ESE_iEESJ_PSD_iiiiiiiii,"axG",@progbits,_ZN2at6native12_GLOBAL__N_128conv_depthwise3d_cuda_kernelIN3c104HalfEfLin1ELin1ELin1ELin1ELin1ELin1EEEvN5torch10headeronly6detail27GenericPackedTensorAccessorINS7_14TensorAccessorINS3_8ArrayRefIlEEKT_Lm4ENS6_16DefaultPtrTraitsEiEENS_6detail16IndexBoundsCheckILm5EiEESD_Lm5ESE_iEENS8_INS9_ISB_SC_Lm4ESE_iEESI_SC_Lm5ESE_iEESJ_PSD_iiiiiiiii,comdat
.Lfunc_end8:
	.size	_ZN2at6native12_GLOBAL__N_128conv_depthwise3d_cuda_kernelIN3c104HalfEfLin1ELin1ELin1ELin1ELin1ELin1EEEvN5torch10headeronly6detail27GenericPackedTensorAccessorINS7_14TensorAccessorINS3_8ArrayRefIlEEKT_Lm4ENS6_16DefaultPtrTraitsEiEENS_6detail16IndexBoundsCheckILm5EiEESD_Lm5ESE_iEENS8_INS9_ISB_SC_Lm4ESE_iEESI_SC_Lm5ESE_iEESJ_PSD_iiiiiiiii, .Lfunc_end8-_ZN2at6native12_GLOBAL__N_128conv_depthwise3d_cuda_kernelIN3c104HalfEfLin1ELin1ELin1ELin1ELin1ELin1EEEvN5torch10headeronly6detail27GenericPackedTensorAccessorINS7_14TensorAccessorINS3_8ArrayRefIlEEKT_Lm4ENS6_16DefaultPtrTraitsEiEENS_6detail16IndexBoundsCheckILm5EiEESD_Lm5ESE_iEENS8_INS9_ISB_SC_Lm4ESE_iEESI_SC_Lm5ESE_iEESJ_PSD_iiiiiiiii
                                        ; -- End function
	.set _ZN2at6native12_GLOBAL__N_128conv_depthwise3d_cuda_kernelIN3c104HalfEfLin1ELin1ELin1ELin1ELin1ELin1EEEvN5torch10headeronly6detail27GenericPackedTensorAccessorINS7_14TensorAccessorINS3_8ArrayRefIlEEKT_Lm4ENS6_16DefaultPtrTraitsEiEENS_6detail16IndexBoundsCheckILm5EiEESD_Lm5ESE_iEENS8_INS9_ISB_SC_Lm4ESE_iEESI_SC_Lm5ESE_iEESJ_PSD_iiiiiiiii.num_vgpr, 24
	.set _ZN2at6native12_GLOBAL__N_128conv_depthwise3d_cuda_kernelIN3c104HalfEfLin1ELin1ELin1ELin1ELin1ELin1EEEvN5torch10headeronly6detail27GenericPackedTensorAccessorINS7_14TensorAccessorINS3_8ArrayRefIlEEKT_Lm4ENS6_16DefaultPtrTraitsEiEENS_6detail16IndexBoundsCheckILm5EiEESD_Lm5ESE_iEENS8_INS9_ISB_SC_Lm4ESE_iEESI_SC_Lm5ESE_iEESJ_PSD_iiiiiiiii.num_agpr, 0
	.set _ZN2at6native12_GLOBAL__N_128conv_depthwise3d_cuda_kernelIN3c104HalfEfLin1ELin1ELin1ELin1ELin1ELin1EEEvN5torch10headeronly6detail27GenericPackedTensorAccessorINS7_14TensorAccessorINS3_8ArrayRefIlEEKT_Lm4ENS6_16DefaultPtrTraitsEiEENS_6detail16IndexBoundsCheckILm5EiEESD_Lm5ESE_iEENS8_INS9_ISB_SC_Lm4ESE_iEESI_SC_Lm5ESE_iEESJ_PSD_iiiiiiiii.numbered_sgpr, 82
	.set _ZN2at6native12_GLOBAL__N_128conv_depthwise3d_cuda_kernelIN3c104HalfEfLin1ELin1ELin1ELin1ELin1ELin1EEEvN5torch10headeronly6detail27GenericPackedTensorAccessorINS7_14TensorAccessorINS3_8ArrayRefIlEEKT_Lm4ENS6_16DefaultPtrTraitsEiEENS_6detail16IndexBoundsCheckILm5EiEESD_Lm5ESE_iEENS8_INS9_ISB_SC_Lm4ESE_iEESI_SC_Lm5ESE_iEESJ_PSD_iiiiiiiii.num_named_barrier, 0
	.set _ZN2at6native12_GLOBAL__N_128conv_depthwise3d_cuda_kernelIN3c104HalfEfLin1ELin1ELin1ELin1ELin1ELin1EEEvN5torch10headeronly6detail27GenericPackedTensorAccessorINS7_14TensorAccessorINS3_8ArrayRefIlEEKT_Lm4ENS6_16DefaultPtrTraitsEiEENS_6detail16IndexBoundsCheckILm5EiEESD_Lm5ESE_iEENS8_INS9_ISB_SC_Lm4ESE_iEESI_SC_Lm5ESE_iEESJ_PSD_iiiiiiiii.private_seg_size, 0
	.set _ZN2at6native12_GLOBAL__N_128conv_depthwise3d_cuda_kernelIN3c104HalfEfLin1ELin1ELin1ELin1ELin1ELin1EEEvN5torch10headeronly6detail27GenericPackedTensorAccessorINS7_14TensorAccessorINS3_8ArrayRefIlEEKT_Lm4ENS6_16DefaultPtrTraitsEiEENS_6detail16IndexBoundsCheckILm5EiEESD_Lm5ESE_iEENS8_INS9_ISB_SC_Lm4ESE_iEESI_SC_Lm5ESE_iEESJ_PSD_iiiiiiiii.uses_vcc, 1
	.set _ZN2at6native12_GLOBAL__N_128conv_depthwise3d_cuda_kernelIN3c104HalfEfLin1ELin1ELin1ELin1ELin1ELin1EEEvN5torch10headeronly6detail27GenericPackedTensorAccessorINS7_14TensorAccessorINS3_8ArrayRefIlEEKT_Lm4ENS6_16DefaultPtrTraitsEiEENS_6detail16IndexBoundsCheckILm5EiEESD_Lm5ESE_iEENS8_INS9_ISB_SC_Lm4ESE_iEESI_SC_Lm5ESE_iEESJ_PSD_iiiiiiiii.uses_flat_scratch, 0
	.set _ZN2at6native12_GLOBAL__N_128conv_depthwise3d_cuda_kernelIN3c104HalfEfLin1ELin1ELin1ELin1ELin1ELin1EEEvN5torch10headeronly6detail27GenericPackedTensorAccessorINS7_14TensorAccessorINS3_8ArrayRefIlEEKT_Lm4ENS6_16DefaultPtrTraitsEiEENS_6detail16IndexBoundsCheckILm5EiEESD_Lm5ESE_iEENS8_INS9_ISB_SC_Lm4ESE_iEESI_SC_Lm5ESE_iEESJ_PSD_iiiiiiiii.has_dyn_sized_stack, 0
	.set _ZN2at6native12_GLOBAL__N_128conv_depthwise3d_cuda_kernelIN3c104HalfEfLin1ELin1ELin1ELin1ELin1ELin1EEEvN5torch10headeronly6detail27GenericPackedTensorAccessorINS7_14TensorAccessorINS3_8ArrayRefIlEEKT_Lm4ENS6_16DefaultPtrTraitsEiEENS_6detail16IndexBoundsCheckILm5EiEESD_Lm5ESE_iEENS8_INS9_ISB_SC_Lm4ESE_iEESI_SC_Lm5ESE_iEESJ_PSD_iiiiiiiii.has_recursion, 0
	.set _ZN2at6native12_GLOBAL__N_128conv_depthwise3d_cuda_kernelIN3c104HalfEfLin1ELin1ELin1ELin1ELin1ELin1EEEvN5torch10headeronly6detail27GenericPackedTensorAccessorINS7_14TensorAccessorINS3_8ArrayRefIlEEKT_Lm4ENS6_16DefaultPtrTraitsEiEENS_6detail16IndexBoundsCheckILm5EiEESD_Lm5ESE_iEENS8_INS9_ISB_SC_Lm4ESE_iEESI_SC_Lm5ESE_iEESJ_PSD_iiiiiiiii.has_indirect_call, 0
	.section	.AMDGPU.csdata,"",@progbits
; Kernel info:
; codeLenInByte = 2020
; TotalNumSgprs: 84
; NumVgprs: 24
; ScratchSize: 0
; MemoryBound: 0
; FloatMode: 240
; IeeeMode: 1
; LDSByteSize: 0 bytes/workgroup (compile time only)
; SGPRBlocks: 0
; VGPRBlocks: 1
; NumSGPRsForWavesPerEU: 84
; NumVGPRsForWavesPerEU: 24
; NamedBarCnt: 0
; Occupancy: 16
; WaveLimiterHint : 0
; COMPUTE_PGM_RSRC2:SCRATCH_EN: 0
; COMPUTE_PGM_RSRC2:USER_SGPR: 2
; COMPUTE_PGM_RSRC2:TRAP_HANDLER: 0
; COMPUTE_PGM_RSRC2:TGID_X_EN: 1
; COMPUTE_PGM_RSRC2:TGID_Y_EN: 0
; COMPUTE_PGM_RSRC2:TGID_Z_EN: 0
; COMPUTE_PGM_RSRC2:TIDIG_COMP_CNT: 0
	.section	.text._ZN2at6native12_GLOBAL__N_128conv_depthwise3d_cuda_kernelIN3c108BFloat16EfLi3ELi3ELi3ELi1ELi1ELi1EEEvN5torch10headeronly6detail27GenericPackedTensorAccessorINS7_14TensorAccessorINS3_8ArrayRefIlEEKT_Lm4ENS6_16DefaultPtrTraitsEiEENS_6detail16IndexBoundsCheckILm5EiEESD_Lm5ESE_iEENS8_INS9_ISB_SC_Lm4ESE_iEESI_SC_Lm5ESE_iEESJ_PSD_iiiiiiiii,"axG",@progbits,_ZN2at6native12_GLOBAL__N_128conv_depthwise3d_cuda_kernelIN3c108BFloat16EfLi3ELi3ELi3ELi1ELi1ELi1EEEvN5torch10headeronly6detail27GenericPackedTensorAccessorINS7_14TensorAccessorINS3_8ArrayRefIlEEKT_Lm4ENS6_16DefaultPtrTraitsEiEENS_6detail16IndexBoundsCheckILm5EiEESD_Lm5ESE_iEENS8_INS9_ISB_SC_Lm4ESE_iEESI_SC_Lm5ESE_iEESJ_PSD_iiiiiiiii,comdat
	.globl	_ZN2at6native12_GLOBAL__N_128conv_depthwise3d_cuda_kernelIN3c108BFloat16EfLi3ELi3ELi3ELi1ELi1ELi1EEEvN5torch10headeronly6detail27GenericPackedTensorAccessorINS7_14TensorAccessorINS3_8ArrayRefIlEEKT_Lm4ENS6_16DefaultPtrTraitsEiEENS_6detail16IndexBoundsCheckILm5EiEESD_Lm5ESE_iEENS8_INS9_ISB_SC_Lm4ESE_iEESI_SC_Lm5ESE_iEESJ_PSD_iiiiiiiii ; -- Begin function _ZN2at6native12_GLOBAL__N_128conv_depthwise3d_cuda_kernelIN3c108BFloat16EfLi3ELi3ELi3ELi1ELi1ELi1EEEvN5torch10headeronly6detail27GenericPackedTensorAccessorINS7_14TensorAccessorINS3_8ArrayRefIlEEKT_Lm4ENS6_16DefaultPtrTraitsEiEENS_6detail16IndexBoundsCheckILm5EiEESD_Lm5ESE_iEENS8_INS9_ISB_SC_Lm4ESE_iEESI_SC_Lm5ESE_iEESJ_PSD_iiiiiiiii
	.p2align	8
	.type	_ZN2at6native12_GLOBAL__N_128conv_depthwise3d_cuda_kernelIN3c108BFloat16EfLi3ELi3ELi3ELi1ELi1ELi1EEEvN5torch10headeronly6detail27GenericPackedTensorAccessorINS7_14TensorAccessorINS3_8ArrayRefIlEEKT_Lm4ENS6_16DefaultPtrTraitsEiEENS_6detail16IndexBoundsCheckILm5EiEESD_Lm5ESE_iEENS8_INS9_ISB_SC_Lm4ESE_iEESI_SC_Lm5ESE_iEESJ_PSD_iiiiiiiii,@function
_ZN2at6native12_GLOBAL__N_128conv_depthwise3d_cuda_kernelIN3c108BFloat16EfLi3ELi3ELi3ELi1ELi1ELi1EEEvN5torch10headeronly6detail27GenericPackedTensorAccessorINS7_14TensorAccessorINS3_8ArrayRefIlEEKT_Lm4ENS6_16DefaultPtrTraitsEiEENS_6detail16IndexBoundsCheckILm5EiEESD_Lm5ESE_iEENS8_INS9_ISB_SC_Lm4ESE_iEESI_SC_Lm5ESE_iEESJ_PSD_iiiiiiiii: ; @_ZN2at6native12_GLOBAL__N_128conv_depthwise3d_cuda_kernelIN3c108BFloat16EfLi3ELi3ELi3ELi1ELi1ELi1EEEvN5torch10headeronly6detail27GenericPackedTensorAccessorINS7_14TensorAccessorINS3_8ArrayRefIlEEKT_Lm4ENS6_16DefaultPtrTraitsEiEENS_6detail16IndexBoundsCheckILm5EiEESD_Lm5ESE_iEENS8_INS9_ISB_SC_Lm4ESE_iEESI_SC_Lm5ESE_iEESJ_PSD_iiiiiiiii
; %bb.0:
	s_clause 0x3
	s_load_b128 s[12:15], s[0:1], 0xc
	s_load_b32 s4, s[0:1], 0xcc
	s_load_b64 s[34:35], s[0:1], 0x48
	s_load_b128 s[16:19], s[0:1], 0x38
	s_bfe_u32 s2, ttmp6, 0x4000c
	s_and_b32 s3, ttmp6, 15
	s_add_co_i32 s2, s2, 1
	s_getreg_b32 s5, hwreg(HW_REG_IB_STS2, 6, 4)
	s_mul_i32 s2, ttmp9, s2
	s_mov_b32 s37, 0
	s_add_co_i32 s2, s3, s2
	v_mov_b32_e32 v1, 0
	s_mov_b32 s3, s37
	s_wait_kmcnt 0x0
	s_abs_i32 s6, s12
	s_cmp_eq_u32 s5, 0
	s_cvt_f32_u32 s7, s6
	s_cselect_b32 s2, ttmp9, s2
	s_and_b32 s4, s4, 0xffff
	s_mov_b32 s5, s37
	v_rcp_iflag_f32_e32 v4, s7
	s_mul_u64 s[38:39], s[4:5], s[2:3]
	s_mul_i32 s40, s35, s16
	v_add_nc_u64_e32 v[2:3], s[38:39], v[0:1]
	s_ashr_i32 s41, s40, 31
	s_mov_b32 s5, exec_lo
	s_delay_alu instid0(TRANS32_DEP_1) | instskip(NEXT) | instid1(VALU_DEP_2)
	v_readfirstlane_b32 s3, v4
	v_cmpx_gt_i64_e64 s[40:41], v[2:3]
	s_cbranch_execz .LBB9_59
; %bb.1:
	s_mul_f32 s3, s3, 0x4f7ffffe
	s_sub_co_i32 s5, 0, s6
	s_abs_i32 s42, s17
	s_mov_b32 s43, s37
	s_cvt_u32_f32 s3, s3
	s_clause 0x1
	s_load_b64 s[44:45], s[0:1], 0x90
	s_load_b32 s33, s[0:1], 0x7c
	s_ashr_i32 s16, s17, 31
	s_mul_i32 s5, s5, s3
	s_add_nc_u64 s[10:11], s[0:1], 0xc0
	s_mul_hi_u32 s5, s3, s5
	s_mov_b32 s46, s15
	s_add_co_i32 s36, s3, s5
	s_ashr_i32 s3, s12, 31
	s_mul_u64 s[8:9], s[42:43], s[36:37]
	s_xor_b32 s3, s16, s3
	s_mul_i32 s5, s9, s6
	s_add_co_i32 s7, s9, 1
	s_sub_co_i32 s5, s42, s5
	s_mov_b32 s59, s37
	s_sub_co_i32 s8, s5, s6
	s_cmp_ge_u32 s5, s6
	s_mov_b32 s61, s37
	s_cselect_b32 s7, s7, s9
	s_cselect_b32 s5, s8, s5
	s_add_co_i32 s8, s7, 1
	s_cmp_ge_u32 s5, s6
	s_mov_b32 s63, s37
	s_cselect_b32 s5, s8, s7
	s_add_co_i32 s6, s14, -3
	s_xor_b32 s5, s5, s3
	s_mul_i32 s48, s15, s6
	s_ashr_i32 s47, s15, 31
	s_sub_co_i32 s3, s5, s3
	s_ashr_i32 s49, s48, 31
	s_wait_kmcnt 0x0
	s_cmp_lg_u64 s[44:45], 0
	s_load_b32 s5, s[10:11], 0x0
	s_cselect_b32 s43, -1, 0
	s_abs_i32 s68, s34
	s_abs_i32 s69, s19
	s_cvt_f32_u32 s6, s68
	s_abs_i32 s71, s18
	s_clause 0x3
	s_load_b128 s[20:23], s[0:1], 0x98
	s_load_b64 s[50:51], s[0:1], 0xa8
	s_load_b64 s[52:53], s[0:1], 0x0
	s_load_b128 s[24:27], s[0:1], 0x1c
	v_rcp_iflag_f32_e32 v2, s6
	s_cvt_f32_u32 s6, s69
	s_clause 0x3
	s_load_b32 s70, s[0:1], 0x2c
	s_load_b64 s[54:55], s[0:1], 0x30
	s_load_b64 s[56:57], s[0:1], 0x60
	s_load_b128 s[28:31], s[0:1], 0x50
	s_sub_co_i32 s7, 0, s68
	v_rcp_iflag_f32_e32 v3, s6
	s_wait_xcnt 0x0
	s_cvt_f32_u32 s0, s42
	v_nop
	v_readfirstlane_b32 s6, v2
	s_abs_i32 s73, s3
	s_ashr_i32 s72, s34, 31
	s_ashr_i32 s74, s19, 31
	;; [unrolled: 1-line block ×3, first 2 shown]
	s_mul_f32 s1, s6, 0x4f7ffffe
	s_wait_kmcnt 0x0
	s_mul_i32 s36, s5, s4
	s_cvt_f32_u32 s5, s71
	v_readfirstlane_b32 s6, v3
	s_cvt_u32_f32 s1, s1
	s_mov_b32 s65, s37
	v_rcp_iflag_f32_e32 v2, s5
	s_ashr_i32 s76, s3, 31
	s_mul_i32 s7, s7, s1
	s_mul_f32 s5, s6, 0x4f7ffffe
	s_mul_hi_u32 s7, s1, s7
	s_sub_co_i32 s6, 0, s69
	s_add_co_i32 s58, s1, s7
	v_nop
	v_readfirstlane_b32 s1, v2
	v_rcp_iflag_f32_e32 v2, s0
	s_cvt_u32_f32 s5, s5
	s_mov_b32 s67, s37
	s_mul_i32 s77, s2, s4
	s_mul_f32 s0, s1, 0x4f7ffffe
	s_cvt_f32_u32 s1, s73
	s_mul_i32 s6, s6, s5
	s_mov_b32 s78, s37
	s_mul_hi_u32 s6, s5, s6
	v_rcp_iflag_f32_e32 v3, s1
	v_nop
	v_readfirstlane_b32 s1, v2
	s_cvt_u32_f32 s0, s0
	s_add_co_i32 s60, s5, s6
	s_sub_co_i32 s5, 0, s71
	s_delay_alu instid0(SALU_CYCLE_1)
	s_mul_i32 s5, s5, s0
	v_readfirstlane_b32 s6, v3
	s_mul_f32 s1, s1, 0x4f7ffffe
	s_mul_hi_u32 s5, s0, s5
	v_mov_b64_e32 v[2:3], v[0:1]
	s_add_co_i32 s62, s0, s5
	s_cvt_u32_f32 s0, s1
	s_mul_f32 s1, s6, 0x4f7ffffe
	s_sub_co_i32 s5, 0, s42
	s_sub_co_i32 s6, 0, s73
	s_mul_i32 s5, s5, s0
	s_cvt_u32_f32 s1, s1
	s_mul_hi_u32 s5, s0, s5
	s_delay_alu instid0(SALU_CYCLE_1) | instskip(NEXT) | instid1(SALU_CYCLE_1)
	s_add_co_i32 s64, s0, s5
	s_mul_i32 s6, s6, s1
	s_delay_alu instid0(SALU_CYCLE_1) | instskip(NEXT) | instid1(SALU_CYCLE_1)
	s_mul_hi_u32 s0, s1, s6
	s_add_co_i32 s66, s1, s0
	s_branch .LBB9_3
.LBB9_2:                                ;   in Loop: Header=BB9_3 Depth=1
	v_mul_lo_u32 v4, v9, s35
	v_mul_lo_u32 v6, s28, v8
	s_wait_xcnt 0x0
	v_mul_lo_u32 v8, s29, v11
	v_mul_lo_u32 v10, s30, v10
	v_add_nc_u64_e32 v[2:3], s[36:37], v[2:3]
	v_mul_lo_u32 v14, s31, v0
	v_bfe_u32 v11, v12, 16, 1
	v_cmp_o_f32_e64 s0, v12, v12
	s_delay_alu instid0(VALU_DEP_2) | instskip(SKIP_2) | instid1(VALU_DEP_3)
	v_add3_u32 v0, v12, v11, 0x7fff
	v_dual_ashrrev_i32 v5, 31, v4 :: v_dual_ashrrev_i32 v7, 31, v6
	v_dual_ashrrev_i32 v9, 31, v8 :: v_dual_ashrrev_i32 v11, 31, v10
	v_dual_lshrrev_b32 v0, 16, v0 :: v_dual_ashrrev_i32 v15, 31, v14
	s_delay_alu instid0(VALU_DEP_3) | instskip(NEXT) | instid1(VALU_DEP_2)
	v_lshl_add_u64 v[4:5], v[4:5], 1, s[54:55]
	v_cndmask_b32_e64 v0, 0x7fc0, v0, s0
	s_delay_alu instid0(VALU_DEP_2) | instskip(SKIP_1) | instid1(VALU_DEP_2)
	v_lshl_add_u64 v[4:5], v[6:7], 1, v[4:5]
	v_add_nc_u64_e32 v[6:7], s[38:39], v[2:3]
	v_lshl_add_u64 v[4:5], v[8:9], 1, v[4:5]
	s_delay_alu instid0(VALU_DEP_2) | instskip(NEXT) | instid1(VALU_DEP_2)
	v_cmp_le_i64_e32 vcc_lo, s[40:41], v[6:7]
	v_lshl_add_u64 v[4:5], v[10:11], 1, v[4:5]
	s_or_b32 s78, vcc_lo, s78
	s_delay_alu instid0(VALU_DEP_1)
	v_lshl_add_u64 v[4:5], v[14:15], 1, v[4:5]
	global_store_b16 v[4:5], v0, off
	s_wait_xcnt 0x0
	s_and_not1_b32 exec_lo, exec_lo, s78
	s_cbranch_execz .LBB9_59
.LBB9_3:                                ; =>This Inner Loop Header: Depth=1
	v_add_nc_u32_e32 v6, s77, v2
	s_delay_alu instid0(VALU_DEP_1) | instskip(NEXT) | instid1(VALU_DEP_1)
	v_sub_nc_u32_e32 v0, 0, v6
	v_max_i32_e32 v0, v6, v0
	s_delay_alu instid0(VALU_DEP_1) | instskip(NEXT) | instid1(VALU_DEP_1)
	v_mul_u64_e32 v[4:5], s[58:59], v[0:1]
	v_mul_lo_u32 v4, v5, s68
	s_delay_alu instid0(VALU_DEP_1) | instskip(NEXT) | instid1(VALU_DEP_1)
	v_dual_sub_nc_u32 v0, v0, v4 :: v_dual_add_nc_u32 v4, 1, v5
	v_subrev_nc_u32_e32 v7, s68, v0
	v_cmp_le_u32_e32 vcc_lo, s68, v0
	s_delay_alu instid0(VALU_DEP_2) | instskip(NEXT) | instid1(VALU_DEP_1)
	v_dual_cndmask_b32 v4, v5, v4, vcc_lo :: v_dual_cndmask_b32 v0, v0, v7, vcc_lo
	v_dual_ashrrev_i32 v5, 31, v6 :: v_dual_add_nc_u32 v7, 1, v4
	s_delay_alu instid0(VALU_DEP_2) | instskip(NEXT) | instid1(VALU_DEP_2)
	v_cmp_le_u32_e32 vcc_lo, s68, v0
	v_dual_cndmask_b32 v0, v4, v7, vcc_lo :: v_dual_bitop2_b32 v5, s72, v5 bitop3:0x14
	s_delay_alu instid0(VALU_DEP_1) | instskip(NEXT) | instid1(VALU_DEP_1)
	v_xor_b32_e32 v0, v0, v5
	v_sub_nc_u32_e32 v7, v0, v5
	s_delay_alu instid0(VALU_DEP_1) | instskip(NEXT) | instid1(VALU_DEP_1)
	v_sub_nc_u32_e32 v0, 0, v7
	v_max_i32_e32 v0, v7, v0
	s_delay_alu instid0(VALU_DEP_1) | instskip(NEXT) | instid1(VALU_DEP_1)
	v_mul_u64_e32 v[4:5], s[60:61], v[0:1]
	v_mul_lo_u32 v4, v5, s69
	s_delay_alu instid0(VALU_DEP_1) | instskip(NEXT) | instid1(VALU_DEP_1)
	v_dual_sub_nc_u32 v0, v0, v4 :: v_dual_add_nc_u32 v4, 1, v5
	v_subrev_nc_u32_e32 v8, s69, v0
	v_cmp_le_u32_e32 vcc_lo, s69, v0
	s_delay_alu instid0(VALU_DEP_3) | instskip(NEXT) | instid1(VALU_DEP_1)
	v_dual_cndmask_b32 v4, v5, v4 :: v_dual_ashrrev_i32 v5, 31, v7
	v_dual_cndmask_b32 v0, v0, v8, vcc_lo :: v_dual_bitop2_b32 v5, s74, v5 bitop3:0x14
	s_delay_alu instid0(VALU_DEP_2) | instskip(NEXT) | instid1(VALU_DEP_2)
	v_add_nc_u32_e32 v8, 1, v4
	v_cmp_le_u32_e32 vcc_lo, s69, v0
	s_delay_alu instid0(VALU_DEP_2) | instskip(NEXT) | instid1(VALU_DEP_1)
	v_cndmask_b32_e32 v0, v4, v8, vcc_lo
	v_xor_b32_e32 v0, v0, v5
	s_delay_alu instid0(VALU_DEP_1) | instskip(NEXT) | instid1(VALU_DEP_1)
	v_sub_nc_u32_e32 v10, v0, v5
	v_sub_nc_u32_e32 v0, 0, v10
	s_delay_alu instid0(VALU_DEP_1) | instskip(NEXT) | instid1(VALU_DEP_1)
	v_max_i32_e32 v0, v10, v0
	v_mul_u64_e32 v[4:5], s[62:63], v[0:1]
	s_delay_alu instid0(VALU_DEP_1) | instskip(NEXT) | instid1(VALU_DEP_1)
	v_mul_lo_u32 v4, v5, s71
	v_dual_sub_nc_u32 v0, v0, v4 :: v_dual_add_nc_u32 v4, 1, v5
	s_delay_alu instid0(VALU_DEP_1) | instskip(SKIP_1) | instid1(VALU_DEP_3)
	v_subrev_nc_u32_e32 v8, s71, v0
	v_cmp_le_u32_e32 vcc_lo, s71, v0
	v_dual_cndmask_b32 v4, v5, v4 :: v_dual_ashrrev_i32 v5, 31, v10
	s_delay_alu instid0(VALU_DEP_1) | instskip(NEXT) | instid1(VALU_DEP_2)
	v_dual_cndmask_b32 v0, v0, v8, vcc_lo :: v_dual_bitop2_b32 v5, s75, v5 bitop3:0x14
	v_add_nc_u32_e32 v8, 1, v4
	s_delay_alu instid0(VALU_DEP_2) | instskip(NEXT) | instid1(VALU_DEP_2)
	v_cmp_le_u32_e32 vcc_lo, s71, v0
	v_cndmask_b32_e32 v0, v4, v8, vcc_lo
	s_delay_alu instid0(VALU_DEP_1) | instskip(NEXT) | instid1(VALU_DEP_1)
	v_xor_b32_e32 v0, v0, v5
	v_sub_nc_u32_e32 v11, v0, v5
	s_delay_alu instid0(VALU_DEP_1) | instskip(NEXT) | instid1(VALU_DEP_1)
	v_sub_nc_u32_e32 v0, 0, v11
	v_max_i32_e32 v0, v11, v0
	s_delay_alu instid0(VALU_DEP_1) | instskip(NEXT) | instid1(VALU_DEP_1)
	v_mul_u64_e32 v[4:5], s[64:65], v[0:1]
	v_mul_lo_u32 v4, v5, s42
	s_delay_alu instid0(VALU_DEP_1) | instskip(NEXT) | instid1(VALU_DEP_1)
	v_dual_sub_nc_u32 v0, v0, v4 :: v_dual_add_nc_u32 v4, 1, v5
	v_subrev_nc_u32_e32 v8, s42, v0
	v_cmp_le_u32_e32 vcc_lo, s42, v0
	s_delay_alu instid0(VALU_DEP_3) | instskip(NEXT) | instid1(VALU_DEP_1)
	v_dual_cndmask_b32 v4, v5, v4 :: v_dual_ashrrev_i32 v5, 31, v11
	v_dual_cndmask_b32 v0, v0, v8, vcc_lo :: v_dual_bitop2_b32 v5, s16, v5 bitop3:0x14
	s_delay_alu instid0(VALU_DEP_2) | instskip(NEXT) | instid1(VALU_DEP_2)
	v_add_nc_u32_e32 v8, 1, v4
	v_cmp_le_u32_e32 vcc_lo, s42, v0
	s_delay_alu instid0(VALU_DEP_2) | instskip(NEXT) | instid1(VALU_DEP_1)
	v_cndmask_b32_e32 v0, v4, v8, vcc_lo
	v_xor_b32_e32 v0, v0, v5
	s_delay_alu instid0(VALU_DEP_1) | instskip(NEXT) | instid1(VALU_DEP_1)
	v_sub_nc_u32_e32 v9, v0, v5
	v_mul_lo_u32 v0, v9, s17
	s_delay_alu instid0(VALU_DEP_1) | instskip(SKIP_1) | instid1(VALU_DEP_2)
	v_sub_nc_u32_e32 v8, v11, v0
	v_mul_lo_u32 v11, v11, s18
	v_dual_sub_nc_u32 v0, 0, v8 :: v_dual_ashrrev_i32 v14, 31, v8
	v_mul_lo_u32 v22, s33, v8
	s_delay_alu instid0(VALU_DEP_2) | instskip(NEXT) | instid1(VALU_DEP_1)
	v_dual_sub_nc_u32 v11, v10, v11 :: v_dual_max_i32 v0, v8, v0
	v_mul_u64_e32 v[4:5], s[66:67], v[0:1]
	s_delay_alu instid0(VALU_DEP_3) | instskip(NEXT) | instid1(VALU_DEP_2)
	v_ashrrev_i32_e32 v23, 31, v22
	v_mul_lo_u32 v4, v5, s73
	s_delay_alu instid0(VALU_DEP_1) | instskip(SKIP_1) | instid1(VALU_DEP_2)
	v_dual_add_nc_u32 v12, 1, v5 :: v_dual_sub_nc_u32 v0, v0, v4
	v_mul_lo_u32 v4, v7, s34
	v_subrev_nc_u32_e32 v13, s73, v0
	v_cmp_le_u32_e32 vcc_lo, s73, v0
	s_delay_alu instid0(VALU_DEP_2) | instskip(SKIP_1) | instid1(VALU_DEP_2)
	v_dual_cndmask_b32 v5, v5, v12, vcc_lo :: v_dual_cndmask_b32 v13, v0, v13, vcc_lo
	v_mul_lo_u32 v12, v10, s19
	v_add_nc_u32_e32 v15, 1, v5
	s_delay_alu instid0(VALU_DEP_3) | instskip(SKIP_1) | instid1(VALU_DEP_3)
	v_cmp_le_u32_e32 vcc_lo, s73, v13
	v_dual_sub_nc_u32 v0, v6, v4 :: v_dual_bitop2_b32 v6, s76, v14 bitop3:0x14
	v_cndmask_b32_e32 v4, v5, v15, vcc_lo
	v_mul_lo_u32 v5, v11, s20
	v_sub_nc_u32_e32 v10, v7, v12
	s_delay_alu instid0(VALU_DEP_4) | instskip(NEXT) | instid1(VALU_DEP_4)
	v_mul_lo_u32 v7, v0, s22
	v_xor_b32_e32 v12, v4, v6
	v_mul_lo_u32 v4, s24, v9
	s_delay_alu instid0(VALU_DEP_4) | instskip(NEXT) | instid1(VALU_DEP_3)
	v_mul_lo_u32 v14, v10, s21
	v_sub_nc_u32_e32 v6, v12, v6
	v_subrev_nc_u32_e32 v13, s23, v5
	v_subrev_nc_u32_e32 v15, s51, v7
	v_ashrrev_i32_e32 v5, 31, v4
	s_delay_alu instid0(VALU_DEP_4)
	v_mul_lo_u32 v6, s25, v6
	v_subrev_nc_u32_e32 v14, s50, v14
	v_mul_lo_u32 v16, s26, v13
	v_mul_lo_u32 v18, s70, v15
	v_lshl_add_u64 v[4:5], v[4:5], 1, s[52:53]
	v_cmp_gt_i32_e64 s11, s13, v13
	v_mul_lo_u32 v20, s27, v14
	v_or_b32_e32 v12, v13, v14
	v_cmp_gt_i32_e64 s5, s14, v14
	v_cmp_gt_i32_e64 s0, s15, v15
	v_cmp_lt_i32_e64 s8, -1, v14
	v_ashrrev_i32_e32 v7, 31, v6
	v_cmp_lt_i32_e64 s7, -1, v13
	v_ashrrev_i32_e32 v17, 31, v16
	v_cmp_lt_i32_e32 vcc_lo, -1, v15
	s_delay_alu instid0(VALU_DEP_4) | instskip(SKIP_3) | instid1(VALU_DEP_4)
	v_lshl_add_u64 v[4:5], v[6:7], 1, v[4:5]
	v_dual_ashrrev_i32 v21, 31, v20 :: v_dual_ashrrev_i32 v19, 31, v18
	v_or_b32_e32 v6, v12, v15
	v_cmp_lt_i32_e64 s4, -1, v12
	v_lshl_add_u64 v[4:5], v[16:17], 1, v[4:5]
	v_mov_b32_e32 v12, 0
	s_delay_alu instid0(VALU_DEP_4) | instskip(NEXT) | instid1(VALU_DEP_3)
	v_cmp_lt_i32_e64 s1, -1, v6
	v_lshl_add_u64 v[6:7], v[20:21], 1, v[4:5]
	v_lshl_add_u64 v[4:5], v[22:23], 1, s[56:57]
	s_and_b32 s1, s1, s11
	s_delay_alu instid0(VALU_DEP_2) | instskip(SKIP_1) | instid1(SALU_CYCLE_1)
	v_lshl_add_u64 v[6:7], v[18:19], 1, v[6:7]
	s_and_b32 s1, s1, s5
	s_and_b32 s2, s1, s0
	s_delay_alu instid0(SALU_CYCLE_1)
	s_and_saveexec_b32 s1, s2
	s_cbranch_execz .LBB9_5
; %bb.4:                                ;   in Loop: Header=BB9_3 Depth=1
	global_load_u16 v12, v[4:5], off
	global_load_u16 v16, v[6:7], off
	s_wait_loadcnt 0x0
	v_fma_mix_f32_bf16 v12, v16, v12, 0 op_sel_hi:[1,1,0]
.LBB9_5:                                ;   in Loop: Header=BB9_3 Depth=1
	s_wait_xcnt 0x0
	s_or_b32 exec_lo, exec_lo, s1
	v_cmp_lt_i32_e64 s1, -2, v15
	v_add_nc_u32_e32 v16, 1, v15
	s_and_b32 s3, s4, s1
	s_delay_alu instid0(VALU_DEP_1) | instskip(SKIP_1) | instid1(SALU_CYCLE_1)
	v_cmp_gt_i32_e64 s2, s15, v16
	s_and_b32 s3, s3, s11
	s_and_b32 s3, s3, s5
	s_delay_alu instid0(SALU_CYCLE_1) | instskip(NEXT) | instid1(SALU_CYCLE_1)
	s_and_b32 s6, s3, s2
	s_and_saveexec_b32 s3, s6
	s_cbranch_execz .LBB9_7
; %bb.6:                                ;   in Loop: Header=BB9_3 Depth=1
	global_load_u16 v16, v[4:5], off offset:2
	global_load_u16 v17, v[6:7], off offset:2
	s_wait_loadcnt 0x0
	v_fma_mix_f32_bf16 v12, v17, v16, v12 op_sel_hi:[1,1,0]
.LBB9_7:                                ;   in Loop: Header=BB9_3 Depth=1
	s_wait_xcnt 0x0
	s_or_b32 exec_lo, exec_lo, s3
	v_cmp_lt_i32_e64 s3, -3, v15
	v_add_nc_u32_e32 v15, 2, v15
	s_and_b32 s6, s4, s3
	s_delay_alu instid0(VALU_DEP_1) | instskip(SKIP_1) | instid1(SALU_CYCLE_1)
	v_cmp_gt_i32_e64 s4, s15, v15
	s_and_b32 s6, s6, s11
	s_and_b32 s6, s6, s5
	s_delay_alu instid0(SALU_CYCLE_1) | instskip(NEXT) | instid1(SALU_CYCLE_1)
	s_and_b32 s9, s6, s4
	s_and_saveexec_b32 s6, s9
	s_cbranch_execz .LBB9_9
; %bb.8:                                ;   in Loop: Header=BB9_3 Depth=1
	global_load_u16 v15, v[4:5], off offset:4
	global_load_u16 v16, v[6:7], off offset:4
	s_wait_loadcnt 0x0
	v_fma_mix_f32_bf16 v12, v16, v15, v12 op_sel_hi:[1,1,0]
.LBB9_9:                                ;   in Loop: Header=BB9_3 Depth=1
	s_wait_xcnt 0x0
	s_or_b32 exec_lo, exec_lo, s6
	v_cmp_lt_i32_e64 s9, -2, v14
	v_add_nc_u32_e32 v15, 1, v14
	v_lshl_add_u64 v[6:7], s[46:47], 1, v[6:7]
	s_and_b32 s10, s7, s9
	s_delay_alu instid0(VALU_DEP_2) | instskip(SKIP_1) | instid1(SALU_CYCLE_1)
	v_cmp_gt_i32_e64 s6, s14, v15
	s_and_b32 s12, s10, vcc_lo
	s_and_b32 s12, s12, s11
	s_delay_alu instid0(SALU_CYCLE_1) | instskip(NEXT) | instid1(SALU_CYCLE_1)
	s_and_b32 s12, s12, s6
	s_and_b32 s79, s12, s0
	s_delay_alu instid0(SALU_CYCLE_1)
	s_and_saveexec_b32 s12, s79
	s_cbranch_execz .LBB9_11
; %bb.10:                               ;   in Loop: Header=BB9_3 Depth=1
	global_load_u16 v15, v[4:5], off offset:6
	global_load_u16 v16, v[6:7], off
	s_wait_loadcnt 0x0
	v_fma_mix_f32_bf16 v12, v16, v15, v12 op_sel_hi:[1,1,0]
.LBB9_11:                               ;   in Loop: Header=BB9_3 Depth=1
	s_wait_xcnt 0x0
	s_or_b32 exec_lo, exec_lo, s12
	s_and_b32 s12, s10, s1
	s_delay_alu instid0(SALU_CYCLE_1) | instskip(NEXT) | instid1(SALU_CYCLE_1)
	s_and_b32 s12, s12, s11
	s_and_b32 s12, s12, s6
	s_delay_alu instid0(SALU_CYCLE_1) | instskip(NEXT) | instid1(SALU_CYCLE_1)
	s_and_b32 s79, s12, s2
	s_and_saveexec_b32 s12, s79
	s_cbranch_execz .LBB9_13
; %bb.12:                               ;   in Loop: Header=BB9_3 Depth=1
	global_load_u16 v15, v[4:5], off offset:8
	global_load_u16 v16, v[6:7], off offset:2
	s_wait_loadcnt 0x0
	v_fma_mix_f32_bf16 v12, v16, v15, v12 op_sel_hi:[1,1,0]
.LBB9_13:                               ;   in Loop: Header=BB9_3 Depth=1
	s_wait_xcnt 0x0
	s_or_b32 exec_lo, exec_lo, s12
	s_and_b32 s10, s10, s3
	s_delay_alu instid0(SALU_CYCLE_1) | instskip(NEXT) | instid1(SALU_CYCLE_1)
	s_and_b32 s10, s10, s11
	s_and_b32 s10, s10, s6
	s_delay_alu instid0(SALU_CYCLE_1) | instskip(NEXT) | instid1(SALU_CYCLE_1)
	s_and_b32 s12, s10, s4
	s_and_saveexec_b32 s10, s12
	s_cbranch_execz .LBB9_15
; %bb.14:                               ;   in Loop: Header=BB9_3 Depth=1
	global_load_u16 v15, v[4:5], off offset:10
	global_load_u16 v16, v[6:7], off offset:4
	s_wait_loadcnt 0x0
	v_fma_mix_f32_bf16 v12, v16, v15, v12 op_sel_hi:[1,1,0]
.LBB9_15:                               ;   in Loop: Header=BB9_3 Depth=1
	s_wait_xcnt 0x0
	s_or_b32 exec_lo, exec_lo, s10
	v_cmp_lt_i32_e64 s10, -3, v14
	v_add_nc_u32_e32 v14, 2, v14
	v_lshl_add_u64 v[6:7], s[46:47], 1, v[6:7]
	s_and_b32 s12, s7, s10
	s_delay_alu instid0(VALU_DEP_2) | instskip(SKIP_1) | instid1(SALU_CYCLE_1)
	v_cmp_gt_i32_e64 s7, s14, v14
	s_and_b32 s79, s12, vcc_lo
	s_and_b32 s79, s79, s11
	s_delay_alu instid0(SALU_CYCLE_1) | instskip(NEXT) | instid1(SALU_CYCLE_1)
	s_and_b32 s79, s79, s7
	s_and_b32 s80, s79, s0
	s_delay_alu instid0(SALU_CYCLE_1)
	s_and_saveexec_b32 s79, s80
	s_cbranch_execz .LBB9_17
; %bb.16:                               ;   in Loop: Header=BB9_3 Depth=1
	global_load_u16 v14, v[4:5], off offset:12
	global_load_u16 v15, v[6:7], off
	s_wait_loadcnt 0x0
	v_fma_mix_f32_bf16 v12, v15, v14, v12 op_sel_hi:[1,1,0]
.LBB9_17:                               ;   in Loop: Header=BB9_3 Depth=1
	s_wait_xcnt 0x0
	s_or_b32 exec_lo, exec_lo, s79
	s_and_b32 s79, s12, s1
	s_delay_alu instid0(SALU_CYCLE_1) | instskip(NEXT) | instid1(SALU_CYCLE_1)
	s_and_b32 s79, s79, s11
	s_and_b32 s79, s79, s7
	s_delay_alu instid0(SALU_CYCLE_1) | instskip(NEXT) | instid1(SALU_CYCLE_1)
	s_and_b32 s80, s79, s2
	s_and_saveexec_b32 s79, s80
	s_cbranch_execz .LBB9_19
; %bb.18:                               ;   in Loop: Header=BB9_3 Depth=1
	global_load_u16 v14, v[4:5], off offset:14
	global_load_u16 v15, v[6:7], off offset:2
	s_wait_loadcnt 0x0
	v_fma_mix_f32_bf16 v12, v15, v14, v12 op_sel_hi:[1,1,0]
.LBB9_19:                               ;   in Loop: Header=BB9_3 Depth=1
	s_wait_xcnt 0x0
	s_or_b32 exec_lo, exec_lo, s79
	s_and_b32 s12, s12, s3
	s_delay_alu instid0(SALU_CYCLE_1) | instskip(NEXT) | instid1(SALU_CYCLE_1)
	s_and_b32 s11, s12, s11
	s_and_b32 s11, s11, s7
	s_delay_alu instid0(SALU_CYCLE_1) | instskip(NEXT) | instid1(SALU_CYCLE_1)
	s_and_b32 s12, s11, s4
	s_and_saveexec_b32 s11, s12
	s_cbranch_execz .LBB9_21
; %bb.20:                               ;   in Loop: Header=BB9_3 Depth=1
	global_load_u16 v14, v[4:5], off offset:16
	global_load_u16 v15, v[6:7], off offset:4
	s_wait_loadcnt 0x0
	v_fma_mix_f32_bf16 v12, v15, v14, v12 op_sel_hi:[1,1,0]
.LBB9_21:                               ;   in Loop: Header=BB9_3 Depth=1
	s_wait_xcnt 0x0
	s_or_b32 exec_lo, exec_lo, s11
	v_add_nc_u32_e32 v14, 1, v13
	v_cmp_lt_i32_e64 s12, -2, v13
	v_lshl_add_u64 v[6:7], s[46:47], 1, v[6:7]
	s_delay_alu instid0(VALU_DEP_3) | instskip(SKIP_3) | instid1(SALU_CYCLE_1)
	v_cmp_gt_i32_e64 s11, s13, v14
	s_and_b32 s79, s12, s8
	v_lshl_add_u64 v[6:7], s[48:49], 1, v[6:7]
	s_and_b32 s80, s79, vcc_lo
	s_and_b32 s80, s80, s11
	s_delay_alu instid0(SALU_CYCLE_1) | instskip(NEXT) | instid1(SALU_CYCLE_1)
	s_and_b32 s80, s80, s5
	s_and_b32 s81, s80, s0
	s_delay_alu instid0(SALU_CYCLE_1)
	s_and_saveexec_b32 s80, s81
	s_cbranch_execz .LBB9_23
; %bb.22:                               ;   in Loop: Header=BB9_3 Depth=1
	global_load_u16 v14, v[4:5], off offset:18
	global_load_u16 v15, v[6:7], off
	s_wait_loadcnt 0x0
	v_fma_mix_f32_bf16 v12, v15, v14, v12 op_sel_hi:[1,1,0]
.LBB9_23:                               ;   in Loop: Header=BB9_3 Depth=1
	s_wait_xcnt 0x0
	s_or_b32 exec_lo, exec_lo, s80
	s_and_b32 s80, s79, s1
	s_delay_alu instid0(SALU_CYCLE_1) | instskip(NEXT) | instid1(SALU_CYCLE_1)
	s_and_b32 s80, s80, s11
	s_and_b32 s80, s80, s5
	s_delay_alu instid0(SALU_CYCLE_1) | instskip(NEXT) | instid1(SALU_CYCLE_1)
	s_and_b32 s81, s80, s2
	s_and_saveexec_b32 s80, s81
	s_cbranch_execz .LBB9_25
; %bb.24:                               ;   in Loop: Header=BB9_3 Depth=1
	global_load_u16 v14, v[4:5], off offset:20
	global_load_u16 v15, v[6:7], off offset:2
	s_wait_loadcnt 0x0
	v_fma_mix_f32_bf16 v12, v15, v14, v12 op_sel_hi:[1,1,0]
.LBB9_25:                               ;   in Loop: Header=BB9_3 Depth=1
	s_wait_xcnt 0x0
	s_or_b32 exec_lo, exec_lo, s80
	s_and_b32 s79, s79, s3
	s_delay_alu instid0(SALU_CYCLE_1) | instskip(NEXT) | instid1(SALU_CYCLE_1)
	s_and_b32 s79, s79, s11
	s_and_b32 s79, s79, s5
	s_delay_alu instid0(SALU_CYCLE_1) | instskip(NEXT) | instid1(SALU_CYCLE_1)
	s_and_b32 s80, s79, s4
	s_and_saveexec_b32 s79, s80
	s_cbranch_execz .LBB9_27
; %bb.26:                               ;   in Loop: Header=BB9_3 Depth=1
	global_load_u16 v14, v[4:5], off offset:22
	global_load_u16 v15, v[6:7], off offset:4
	s_wait_loadcnt 0x0
	v_fma_mix_f32_bf16 v12, v15, v14, v12 op_sel_hi:[1,1,0]
.LBB9_27:                               ;   in Loop: Header=BB9_3 Depth=1
	s_wait_xcnt 0x0
	s_or_b32 exec_lo, exec_lo, s79
	s_and_b32 s79, s12, s9
	v_lshl_add_u64 v[6:7], s[46:47], 1, v[6:7]
	s_and_b32 s80, s79, vcc_lo
	s_delay_alu instid0(SALU_CYCLE_1) | instskip(NEXT) | instid1(SALU_CYCLE_1)
	s_and_b32 s80, s80, s11
	s_and_b32 s80, s80, s6
	s_delay_alu instid0(SALU_CYCLE_1) | instskip(NEXT) | instid1(SALU_CYCLE_1)
	s_and_b32 s81, s80, s0
	s_and_saveexec_b32 s80, s81
	s_cbranch_execz .LBB9_29
; %bb.28:                               ;   in Loop: Header=BB9_3 Depth=1
	global_load_u16 v14, v[4:5], off offset:24
	global_load_u16 v15, v[6:7], off
	s_wait_loadcnt 0x0
	v_fma_mix_f32_bf16 v12, v15, v14, v12 op_sel_hi:[1,1,0]
.LBB9_29:                               ;   in Loop: Header=BB9_3 Depth=1
	s_wait_xcnt 0x0
	s_or_b32 exec_lo, exec_lo, s80
	s_and_b32 s80, s79, s1
	s_delay_alu instid0(SALU_CYCLE_1) | instskip(NEXT) | instid1(SALU_CYCLE_1)
	s_and_b32 s80, s80, s11
	s_and_b32 s80, s80, s6
	s_delay_alu instid0(SALU_CYCLE_1) | instskip(NEXT) | instid1(SALU_CYCLE_1)
	s_and_b32 s81, s80, s2
	s_and_saveexec_b32 s80, s81
	s_cbranch_execz .LBB9_31
; %bb.30:                               ;   in Loop: Header=BB9_3 Depth=1
	global_load_u16 v14, v[4:5], off offset:26
	global_load_u16 v15, v[6:7], off offset:2
	s_wait_loadcnt 0x0
	v_fma_mix_f32_bf16 v12, v15, v14, v12 op_sel_hi:[1,1,0]
.LBB9_31:                               ;   in Loop: Header=BB9_3 Depth=1
	s_wait_xcnt 0x0
	s_or_b32 exec_lo, exec_lo, s80
	s_and_b32 s79, s79, s3
	s_delay_alu instid0(SALU_CYCLE_1) | instskip(NEXT) | instid1(SALU_CYCLE_1)
	s_and_b32 s79, s79, s11
	s_and_b32 s79, s79, s6
	s_delay_alu instid0(SALU_CYCLE_1) | instskip(NEXT) | instid1(SALU_CYCLE_1)
	s_and_b32 s80, s79, s4
	s_and_saveexec_b32 s79, s80
	s_cbranch_execz .LBB9_33
; %bb.32:                               ;   in Loop: Header=BB9_3 Depth=1
	global_load_u16 v14, v[4:5], off offset:28
	global_load_u16 v15, v[6:7], off offset:4
	s_wait_loadcnt 0x0
	v_fma_mix_f32_bf16 v12, v15, v14, v12 op_sel_hi:[1,1,0]
.LBB9_33:                               ;   in Loop: Header=BB9_3 Depth=1
	s_wait_xcnt 0x0
	s_or_b32 exec_lo, exec_lo, s79
	s_and_b32 s12, s12, s10
	v_lshl_add_u64 v[6:7], s[46:47], 1, v[6:7]
	s_and_b32 s79, s12, vcc_lo
	s_delay_alu instid0(SALU_CYCLE_1) | instskip(NEXT) | instid1(SALU_CYCLE_1)
	s_and_b32 s79, s79, s11
	s_and_b32 s79, s79, s7
	s_delay_alu instid0(SALU_CYCLE_1) | instskip(NEXT) | instid1(SALU_CYCLE_1)
	s_and_b32 s80, s79, s0
	s_and_saveexec_b32 s79, s80
	s_cbranch_execz .LBB9_35
; %bb.34:                               ;   in Loop: Header=BB9_3 Depth=1
	global_load_u16 v14, v[4:5], off offset:30
	global_load_u16 v15, v[6:7], off
	s_wait_loadcnt 0x0
	v_fma_mix_f32_bf16 v12, v15, v14, v12 op_sel_hi:[1,1,0]
.LBB9_35:                               ;   in Loop: Header=BB9_3 Depth=1
	s_wait_xcnt 0x0
	s_or_b32 exec_lo, exec_lo, s79
	s_and_b32 s79, s12, s1
	s_delay_alu instid0(SALU_CYCLE_1) | instskip(NEXT) | instid1(SALU_CYCLE_1)
	s_and_b32 s79, s79, s11
	s_and_b32 s79, s79, s7
	s_delay_alu instid0(SALU_CYCLE_1) | instskip(NEXT) | instid1(SALU_CYCLE_1)
	s_and_b32 s80, s79, s2
	s_and_saveexec_b32 s79, s80
	s_cbranch_execz .LBB9_37
; %bb.36:                               ;   in Loop: Header=BB9_3 Depth=1
	global_load_u16 v14, v[4:5], off offset:32
	global_load_u16 v15, v[6:7], off offset:2
	s_wait_loadcnt 0x0
	v_fma_mix_f32_bf16 v12, v15, v14, v12 op_sel_hi:[1,1,0]
.LBB9_37:                               ;   in Loop: Header=BB9_3 Depth=1
	s_wait_xcnt 0x0
	s_or_b32 exec_lo, exec_lo, s79
	s_and_b32 s12, s12, s3
	s_delay_alu instid0(SALU_CYCLE_1) | instskip(NEXT) | instid1(SALU_CYCLE_1)
	s_and_b32 s11, s12, s11
	s_and_b32 s11, s11, s7
	s_delay_alu instid0(SALU_CYCLE_1) | instskip(NEXT) | instid1(SALU_CYCLE_1)
	s_and_b32 s12, s11, s4
	s_and_saveexec_b32 s11, s12
	s_cbranch_execz .LBB9_39
; %bb.38:                               ;   in Loop: Header=BB9_3 Depth=1
	global_load_u16 v14, v[4:5], off offset:34
	global_load_u16 v15, v[6:7], off offset:4
	s_wait_loadcnt 0x0
	v_fma_mix_f32_bf16 v12, v15, v14, v12 op_sel_hi:[1,1,0]
.LBB9_39:                               ;   in Loop: Header=BB9_3 Depth=1
	s_wait_xcnt 0x0
	s_or_b32 exec_lo, exec_lo, s11
	v_add_nc_u32_e32 v14, 2, v13
	v_cmp_lt_i32_e64 s12, -3, v13
	v_lshl_add_u64 v[6:7], s[46:47], 1, v[6:7]
	s_delay_alu instid0(VALU_DEP_3) | instskip(SKIP_3) | instid1(SALU_CYCLE_1)
	v_cmp_gt_i32_e64 s11, s13, v14
	s_and_b32 s8, s12, s8
	v_lshl_add_u64 v[6:7], s[48:49], 1, v[6:7]
	s_and_b32 s79, s8, vcc_lo
	s_and_b32 s79, s79, s11
	s_delay_alu instid0(SALU_CYCLE_1) | instskip(NEXT) | instid1(SALU_CYCLE_1)
	s_and_b32 s79, s79, s5
	s_and_b32 s80, s79, s0
	s_delay_alu instid0(SALU_CYCLE_1)
	s_and_saveexec_b32 s79, s80
	s_cbranch_execz .LBB9_41
; %bb.40:                               ;   in Loop: Header=BB9_3 Depth=1
	global_load_u16 v13, v[4:5], off offset:36
	global_load_u16 v14, v[6:7], off
	s_wait_loadcnt 0x0
	v_fma_mix_f32_bf16 v12, v14, v13, v12 op_sel_hi:[1,1,0]
.LBB9_41:                               ;   in Loop: Header=BB9_3 Depth=1
	s_wait_xcnt 0x0
	s_or_b32 exec_lo, exec_lo, s79
	s_and_b32 s79, s8, s1
	s_delay_alu instid0(SALU_CYCLE_1) | instskip(NEXT) | instid1(SALU_CYCLE_1)
	s_and_b32 s79, s79, s11
	s_and_b32 s79, s79, s5
	s_delay_alu instid0(SALU_CYCLE_1) | instskip(NEXT) | instid1(SALU_CYCLE_1)
	s_and_b32 s80, s79, s2
	s_and_saveexec_b32 s79, s80
	s_cbranch_execz .LBB9_43
; %bb.42:                               ;   in Loop: Header=BB9_3 Depth=1
	global_load_u16 v13, v[4:5], off offset:38
	global_load_u16 v14, v[6:7], off offset:2
	s_wait_loadcnt 0x0
	v_fma_mix_f32_bf16 v12, v14, v13, v12 op_sel_hi:[1,1,0]
.LBB9_43:                               ;   in Loop: Header=BB9_3 Depth=1
	s_wait_xcnt 0x0
	s_or_b32 exec_lo, exec_lo, s79
	s_and_b32 s8, s8, s3
	s_delay_alu instid0(SALU_CYCLE_1) | instskip(NEXT) | instid1(SALU_CYCLE_1)
	s_and_b32 s8, s8, s11
	s_and_b32 s5, s8, s5
	s_delay_alu instid0(SALU_CYCLE_1) | instskip(NEXT) | instid1(SALU_CYCLE_1)
	s_and_b32 s8, s5, s4
	s_and_saveexec_b32 s5, s8
	s_cbranch_execz .LBB9_45
; %bb.44:                               ;   in Loop: Header=BB9_3 Depth=1
	global_load_u16 v13, v[4:5], off offset:40
	global_load_u16 v14, v[6:7], off offset:4
	s_wait_loadcnt 0x0
	v_fma_mix_f32_bf16 v12, v14, v13, v12 op_sel_hi:[1,1,0]
.LBB9_45:                               ;   in Loop: Header=BB9_3 Depth=1
	s_wait_xcnt 0x0
	s_or_b32 exec_lo, exec_lo, s5
	s_and_b32 s5, s12, s9
	v_lshl_add_u64 v[6:7], s[46:47], 1, v[6:7]
	s_and_b32 s8, s5, vcc_lo
	s_delay_alu instid0(SALU_CYCLE_1) | instskip(NEXT) | instid1(SALU_CYCLE_1)
	s_and_b32 s8, s8, s11
	s_and_b32 s8, s8, s6
	s_delay_alu instid0(SALU_CYCLE_1) | instskip(NEXT) | instid1(SALU_CYCLE_1)
	s_and_b32 s9, s8, s0
	s_and_saveexec_b32 s8, s9
	s_cbranch_execz .LBB9_47
; %bb.46:                               ;   in Loop: Header=BB9_3 Depth=1
	global_load_u16 v13, v[4:5], off offset:42
	global_load_u16 v14, v[6:7], off
	s_wait_loadcnt 0x0
	v_fma_mix_f32_bf16 v12, v14, v13, v12 op_sel_hi:[1,1,0]
.LBB9_47:                               ;   in Loop: Header=BB9_3 Depth=1
	s_wait_xcnt 0x0
	s_or_b32 exec_lo, exec_lo, s8
	s_and_b32 s8, s5, s1
	s_delay_alu instid0(SALU_CYCLE_1) | instskip(NEXT) | instid1(SALU_CYCLE_1)
	s_and_b32 s8, s8, s11
	s_and_b32 s8, s8, s6
	s_delay_alu instid0(SALU_CYCLE_1) | instskip(NEXT) | instid1(SALU_CYCLE_1)
	s_and_b32 s9, s8, s2
	s_and_saveexec_b32 s8, s9
	s_cbranch_execz .LBB9_49
; %bb.48:                               ;   in Loop: Header=BB9_3 Depth=1
	global_load_u16 v13, v[4:5], off offset:44
	global_load_u16 v14, v[6:7], off offset:2
	s_wait_loadcnt 0x0
	v_fma_mix_f32_bf16 v12, v14, v13, v12 op_sel_hi:[1,1,0]
.LBB9_49:                               ;   in Loop: Header=BB9_3 Depth=1
	s_wait_xcnt 0x0
	s_or_b32 exec_lo, exec_lo, s8
	s_and_b32 s5, s5, s3
	s_delay_alu instid0(SALU_CYCLE_1) | instskip(NEXT) | instid1(SALU_CYCLE_1)
	s_and_b32 s5, s5, s11
	s_and_b32 s5, s5, s6
	s_delay_alu instid0(SALU_CYCLE_1) | instskip(NEXT) | instid1(SALU_CYCLE_1)
	s_and_b32 s6, s5, s4
	s_and_saveexec_b32 s5, s6
	s_cbranch_execz .LBB9_51
; %bb.50:                               ;   in Loop: Header=BB9_3 Depth=1
	global_load_u16 v13, v[4:5], off offset:46
	global_load_u16 v14, v[6:7], off offset:4
	s_wait_loadcnt 0x0
	v_fma_mix_f32_bf16 v12, v14, v13, v12 op_sel_hi:[1,1,0]
.LBB9_51:                               ;   in Loop: Header=BB9_3 Depth=1
	s_wait_xcnt 0x0
	s_or_b32 exec_lo, exec_lo, s5
	s_and_b32 s5, s12, s10
	v_lshl_add_u64 v[6:7], s[46:47], 1, v[6:7]
	s_and_b32 s6, s5, vcc_lo
	s_delay_alu instid0(SALU_CYCLE_1) | instskip(NEXT) | instid1(SALU_CYCLE_1)
	s_and_b32 s6, s6, s11
	s_and_b32 s6, s6, s7
	s_delay_alu instid0(SALU_CYCLE_1) | instskip(NEXT) | instid1(SALU_CYCLE_1)
	s_and_b32 s6, s6, s0
	s_and_saveexec_b32 s0, s6
	s_cbranch_execz .LBB9_53
; %bb.52:                               ;   in Loop: Header=BB9_3 Depth=1
	global_load_u16 v13, v[4:5], off offset:48
	global_load_u16 v14, v[6:7], off
	s_wait_loadcnt 0x0
	v_fma_mix_f32_bf16 v12, v14, v13, v12 op_sel_hi:[1,1,0]
.LBB9_53:                               ;   in Loop: Header=BB9_3 Depth=1
	s_wait_xcnt 0x0
	s_or_b32 exec_lo, exec_lo, s0
	s_and_b32 s0, s5, s1
	s_delay_alu instid0(SALU_CYCLE_1) | instskip(NEXT) | instid1(SALU_CYCLE_1)
	s_and_b32 s0, s0, s11
	s_and_b32 s0, s0, s7
	s_delay_alu instid0(SALU_CYCLE_1) | instskip(NEXT) | instid1(SALU_CYCLE_1)
	s_and_b32 s1, s0, s2
	s_and_saveexec_b32 s0, s1
	s_cbranch_execz .LBB9_55
; %bb.54:                               ;   in Loop: Header=BB9_3 Depth=1
	global_load_u16 v13, v[4:5], off offset:50
	global_load_u16 v14, v[6:7], off offset:2
	s_wait_loadcnt 0x0
	v_fma_mix_f32_bf16 v12, v14, v13, v12 op_sel_hi:[1,1,0]
.LBB9_55:                               ;   in Loop: Header=BB9_3 Depth=1
	s_wait_xcnt 0x0
	s_or_b32 exec_lo, exec_lo, s0
	s_and_b32 s0, s5, s3
	s_delay_alu instid0(SALU_CYCLE_1) | instskip(NEXT) | instid1(SALU_CYCLE_1)
	s_and_b32 s0, s0, s11
	s_and_b32 s0, s0, s7
	s_delay_alu instid0(SALU_CYCLE_1) | instskip(NEXT) | instid1(SALU_CYCLE_1)
	s_and_b32 s1, s0, s4
	s_and_saveexec_b32 s0, s1
	s_cbranch_execz .LBB9_57
; %bb.56:                               ;   in Loop: Header=BB9_3 Depth=1
	global_load_u16 v4, v[4:5], off offset:52
	global_load_u16 v5, v[6:7], off offset:4
	s_wait_loadcnt 0x0
	v_fma_mix_f32_bf16 v12, v5, v4, v12 op_sel_hi:[1,1,0]
.LBB9_57:                               ;   in Loop: Header=BB9_3 Depth=1
	s_wait_xcnt 0x0
	s_or_b32 exec_lo, exec_lo, s0
	s_delay_alu instid0(SALU_CYCLE_1)
	s_and_not1_b32 vcc_lo, exec_lo, s43
	s_cbranch_vccnz .LBB9_2
; %bb.58:                               ;   in Loop: Header=BB9_3 Depth=1
	global_load_u16 v4, v8, s[44:45] scale_offset
	s_wait_loadcnt 0x0
	v_lshlrev_b32_e32 v4, 16, v4
	s_delay_alu instid0(VALU_DEP_1)
	v_add_f32_e32 v12, v12, v4
	s_branch .LBB9_2
.LBB9_59:
	s_endpgm
	.section	.rodata,"a",@progbits
	.p2align	6, 0x0
	.amdhsa_kernel _ZN2at6native12_GLOBAL__N_128conv_depthwise3d_cuda_kernelIN3c108BFloat16EfLi3ELi3ELi3ELi1ELi1ELi1EEEvN5torch10headeronly6detail27GenericPackedTensorAccessorINS7_14TensorAccessorINS3_8ArrayRefIlEEKT_Lm4ENS6_16DefaultPtrTraitsEiEENS_6detail16IndexBoundsCheckILm5EiEESD_Lm5ESE_iEENS8_INS9_ISB_SC_Lm4ESE_iEESI_SC_Lm5ESE_iEESJ_PSD_iiiiiiiii
		.amdhsa_group_segment_fixed_size 0
		.amdhsa_private_segment_fixed_size 0
		.amdhsa_kernarg_size 448
		.amdhsa_user_sgpr_count 2
		.amdhsa_user_sgpr_dispatch_ptr 0
		.amdhsa_user_sgpr_queue_ptr 0
		.amdhsa_user_sgpr_kernarg_segment_ptr 1
		.amdhsa_user_sgpr_dispatch_id 0
		.amdhsa_user_sgpr_kernarg_preload_length 0
		.amdhsa_user_sgpr_kernarg_preload_offset 0
		.amdhsa_user_sgpr_private_segment_size 0
		.amdhsa_wavefront_size32 1
		.amdhsa_uses_dynamic_stack 0
		.amdhsa_enable_private_segment 0
		.amdhsa_system_sgpr_workgroup_id_x 1
		.amdhsa_system_sgpr_workgroup_id_y 0
		.amdhsa_system_sgpr_workgroup_id_z 0
		.amdhsa_system_sgpr_workgroup_info 0
		.amdhsa_system_vgpr_workitem_id 0
		.amdhsa_next_free_vgpr 24
		.amdhsa_next_free_sgpr 82
		.amdhsa_named_barrier_count 0
		.amdhsa_reserve_vcc 1
		.amdhsa_float_round_mode_32 0
		.amdhsa_float_round_mode_16_64 0
		.amdhsa_float_denorm_mode_32 3
		.amdhsa_float_denorm_mode_16_64 3
		.amdhsa_fp16_overflow 0
		.amdhsa_memory_ordered 1
		.amdhsa_forward_progress 1
		.amdhsa_inst_pref_size 33
		.amdhsa_round_robin_scheduling 0
		.amdhsa_exception_fp_ieee_invalid_op 0
		.amdhsa_exception_fp_denorm_src 0
		.amdhsa_exception_fp_ieee_div_zero 0
		.amdhsa_exception_fp_ieee_overflow 0
		.amdhsa_exception_fp_ieee_underflow 0
		.amdhsa_exception_fp_ieee_inexact 0
		.amdhsa_exception_int_div_zero 0
	.end_amdhsa_kernel
	.section	.text._ZN2at6native12_GLOBAL__N_128conv_depthwise3d_cuda_kernelIN3c108BFloat16EfLi3ELi3ELi3ELi1ELi1ELi1EEEvN5torch10headeronly6detail27GenericPackedTensorAccessorINS7_14TensorAccessorINS3_8ArrayRefIlEEKT_Lm4ENS6_16DefaultPtrTraitsEiEENS_6detail16IndexBoundsCheckILm5EiEESD_Lm5ESE_iEENS8_INS9_ISB_SC_Lm4ESE_iEESI_SC_Lm5ESE_iEESJ_PSD_iiiiiiiii,"axG",@progbits,_ZN2at6native12_GLOBAL__N_128conv_depthwise3d_cuda_kernelIN3c108BFloat16EfLi3ELi3ELi3ELi1ELi1ELi1EEEvN5torch10headeronly6detail27GenericPackedTensorAccessorINS7_14TensorAccessorINS3_8ArrayRefIlEEKT_Lm4ENS6_16DefaultPtrTraitsEiEENS_6detail16IndexBoundsCheckILm5EiEESD_Lm5ESE_iEENS8_INS9_ISB_SC_Lm4ESE_iEESI_SC_Lm5ESE_iEESJ_PSD_iiiiiiiii,comdat
.Lfunc_end9:
	.size	_ZN2at6native12_GLOBAL__N_128conv_depthwise3d_cuda_kernelIN3c108BFloat16EfLi3ELi3ELi3ELi1ELi1ELi1EEEvN5torch10headeronly6detail27GenericPackedTensorAccessorINS7_14TensorAccessorINS3_8ArrayRefIlEEKT_Lm4ENS6_16DefaultPtrTraitsEiEENS_6detail16IndexBoundsCheckILm5EiEESD_Lm5ESE_iEENS8_INS9_ISB_SC_Lm4ESE_iEESI_SC_Lm5ESE_iEESJ_PSD_iiiiiiiii, .Lfunc_end9-_ZN2at6native12_GLOBAL__N_128conv_depthwise3d_cuda_kernelIN3c108BFloat16EfLi3ELi3ELi3ELi1ELi1ELi1EEEvN5torch10headeronly6detail27GenericPackedTensorAccessorINS7_14TensorAccessorINS3_8ArrayRefIlEEKT_Lm4ENS6_16DefaultPtrTraitsEiEENS_6detail16IndexBoundsCheckILm5EiEESD_Lm5ESE_iEENS8_INS9_ISB_SC_Lm4ESE_iEESI_SC_Lm5ESE_iEESJ_PSD_iiiiiiiii
                                        ; -- End function
	.set _ZN2at6native12_GLOBAL__N_128conv_depthwise3d_cuda_kernelIN3c108BFloat16EfLi3ELi3ELi3ELi1ELi1ELi1EEEvN5torch10headeronly6detail27GenericPackedTensorAccessorINS7_14TensorAccessorINS3_8ArrayRefIlEEKT_Lm4ENS6_16DefaultPtrTraitsEiEENS_6detail16IndexBoundsCheckILm5EiEESD_Lm5ESE_iEENS8_INS9_ISB_SC_Lm4ESE_iEESI_SC_Lm5ESE_iEESJ_PSD_iiiiiiiii.num_vgpr, 24
	.set _ZN2at6native12_GLOBAL__N_128conv_depthwise3d_cuda_kernelIN3c108BFloat16EfLi3ELi3ELi3ELi1ELi1ELi1EEEvN5torch10headeronly6detail27GenericPackedTensorAccessorINS7_14TensorAccessorINS3_8ArrayRefIlEEKT_Lm4ENS6_16DefaultPtrTraitsEiEENS_6detail16IndexBoundsCheckILm5EiEESD_Lm5ESE_iEENS8_INS9_ISB_SC_Lm4ESE_iEESI_SC_Lm5ESE_iEESJ_PSD_iiiiiiiii.num_agpr, 0
	.set _ZN2at6native12_GLOBAL__N_128conv_depthwise3d_cuda_kernelIN3c108BFloat16EfLi3ELi3ELi3ELi1ELi1ELi1EEEvN5torch10headeronly6detail27GenericPackedTensorAccessorINS7_14TensorAccessorINS3_8ArrayRefIlEEKT_Lm4ENS6_16DefaultPtrTraitsEiEENS_6detail16IndexBoundsCheckILm5EiEESD_Lm5ESE_iEENS8_INS9_ISB_SC_Lm4ESE_iEESI_SC_Lm5ESE_iEESJ_PSD_iiiiiiiii.numbered_sgpr, 82
	.set _ZN2at6native12_GLOBAL__N_128conv_depthwise3d_cuda_kernelIN3c108BFloat16EfLi3ELi3ELi3ELi1ELi1ELi1EEEvN5torch10headeronly6detail27GenericPackedTensorAccessorINS7_14TensorAccessorINS3_8ArrayRefIlEEKT_Lm4ENS6_16DefaultPtrTraitsEiEENS_6detail16IndexBoundsCheckILm5EiEESD_Lm5ESE_iEENS8_INS9_ISB_SC_Lm4ESE_iEESI_SC_Lm5ESE_iEESJ_PSD_iiiiiiiii.num_named_barrier, 0
	.set _ZN2at6native12_GLOBAL__N_128conv_depthwise3d_cuda_kernelIN3c108BFloat16EfLi3ELi3ELi3ELi1ELi1ELi1EEEvN5torch10headeronly6detail27GenericPackedTensorAccessorINS7_14TensorAccessorINS3_8ArrayRefIlEEKT_Lm4ENS6_16DefaultPtrTraitsEiEENS_6detail16IndexBoundsCheckILm5EiEESD_Lm5ESE_iEENS8_INS9_ISB_SC_Lm4ESE_iEESI_SC_Lm5ESE_iEESJ_PSD_iiiiiiiii.private_seg_size, 0
	.set _ZN2at6native12_GLOBAL__N_128conv_depthwise3d_cuda_kernelIN3c108BFloat16EfLi3ELi3ELi3ELi1ELi1ELi1EEEvN5torch10headeronly6detail27GenericPackedTensorAccessorINS7_14TensorAccessorINS3_8ArrayRefIlEEKT_Lm4ENS6_16DefaultPtrTraitsEiEENS_6detail16IndexBoundsCheckILm5EiEESD_Lm5ESE_iEENS8_INS9_ISB_SC_Lm4ESE_iEESI_SC_Lm5ESE_iEESJ_PSD_iiiiiiiii.uses_vcc, 1
	.set _ZN2at6native12_GLOBAL__N_128conv_depthwise3d_cuda_kernelIN3c108BFloat16EfLi3ELi3ELi3ELi1ELi1ELi1EEEvN5torch10headeronly6detail27GenericPackedTensorAccessorINS7_14TensorAccessorINS3_8ArrayRefIlEEKT_Lm4ENS6_16DefaultPtrTraitsEiEENS_6detail16IndexBoundsCheckILm5EiEESD_Lm5ESE_iEENS8_INS9_ISB_SC_Lm4ESE_iEESI_SC_Lm5ESE_iEESJ_PSD_iiiiiiiii.uses_flat_scratch, 0
	.set _ZN2at6native12_GLOBAL__N_128conv_depthwise3d_cuda_kernelIN3c108BFloat16EfLi3ELi3ELi3ELi1ELi1ELi1EEEvN5torch10headeronly6detail27GenericPackedTensorAccessorINS7_14TensorAccessorINS3_8ArrayRefIlEEKT_Lm4ENS6_16DefaultPtrTraitsEiEENS_6detail16IndexBoundsCheckILm5EiEESD_Lm5ESE_iEENS8_INS9_ISB_SC_Lm4ESE_iEESI_SC_Lm5ESE_iEESJ_PSD_iiiiiiiii.has_dyn_sized_stack, 0
	.set _ZN2at6native12_GLOBAL__N_128conv_depthwise3d_cuda_kernelIN3c108BFloat16EfLi3ELi3ELi3ELi1ELi1ELi1EEEvN5torch10headeronly6detail27GenericPackedTensorAccessorINS7_14TensorAccessorINS3_8ArrayRefIlEEKT_Lm4ENS6_16DefaultPtrTraitsEiEENS_6detail16IndexBoundsCheckILm5EiEESD_Lm5ESE_iEENS8_INS9_ISB_SC_Lm4ESE_iEESI_SC_Lm5ESE_iEESJ_PSD_iiiiiiiii.has_recursion, 0
	.set _ZN2at6native12_GLOBAL__N_128conv_depthwise3d_cuda_kernelIN3c108BFloat16EfLi3ELi3ELi3ELi1ELi1ELi1EEEvN5torch10headeronly6detail27GenericPackedTensorAccessorINS7_14TensorAccessorINS3_8ArrayRefIlEEKT_Lm4ENS6_16DefaultPtrTraitsEiEENS_6detail16IndexBoundsCheckILm5EiEESD_Lm5ESE_iEENS8_INS9_ISB_SC_Lm4ESE_iEESI_SC_Lm5ESE_iEESJ_PSD_iiiiiiiii.has_indirect_call, 0
	.section	.AMDGPU.csdata,"",@progbits
; Kernel info:
; codeLenInByte = 4112
; TotalNumSgprs: 84
; NumVgprs: 24
; ScratchSize: 0
; MemoryBound: 0
; FloatMode: 240
; IeeeMode: 1
; LDSByteSize: 0 bytes/workgroup (compile time only)
; SGPRBlocks: 0
; VGPRBlocks: 1
; NumSGPRsForWavesPerEU: 84
; NumVGPRsForWavesPerEU: 24
; NamedBarCnt: 0
; Occupancy: 16
; WaveLimiterHint : 0
; COMPUTE_PGM_RSRC2:SCRATCH_EN: 0
; COMPUTE_PGM_RSRC2:USER_SGPR: 2
; COMPUTE_PGM_RSRC2:TRAP_HANDLER: 0
; COMPUTE_PGM_RSRC2:TGID_X_EN: 1
; COMPUTE_PGM_RSRC2:TGID_Y_EN: 0
; COMPUTE_PGM_RSRC2:TGID_Z_EN: 0
; COMPUTE_PGM_RSRC2:TIDIG_COMP_CNT: 0
	.section	.text._ZN2at6native12_GLOBAL__N_128conv_depthwise3d_cuda_kernelIN3c108BFloat16EfLin1ELin1ELin1ELi1ELi1ELi1EEEvN5torch10headeronly6detail27GenericPackedTensorAccessorINS7_14TensorAccessorINS3_8ArrayRefIlEEKT_Lm4ENS6_16DefaultPtrTraitsEiEENS_6detail16IndexBoundsCheckILm5EiEESD_Lm5ESE_iEENS8_INS9_ISB_SC_Lm4ESE_iEESI_SC_Lm5ESE_iEESJ_PSD_iiiiiiiii,"axG",@progbits,_ZN2at6native12_GLOBAL__N_128conv_depthwise3d_cuda_kernelIN3c108BFloat16EfLin1ELin1ELin1ELi1ELi1ELi1EEEvN5torch10headeronly6detail27GenericPackedTensorAccessorINS7_14TensorAccessorINS3_8ArrayRefIlEEKT_Lm4ENS6_16DefaultPtrTraitsEiEENS_6detail16IndexBoundsCheckILm5EiEESD_Lm5ESE_iEENS8_INS9_ISB_SC_Lm4ESE_iEESI_SC_Lm5ESE_iEESJ_PSD_iiiiiiiii,comdat
	.globl	_ZN2at6native12_GLOBAL__N_128conv_depthwise3d_cuda_kernelIN3c108BFloat16EfLin1ELin1ELin1ELi1ELi1ELi1EEEvN5torch10headeronly6detail27GenericPackedTensorAccessorINS7_14TensorAccessorINS3_8ArrayRefIlEEKT_Lm4ENS6_16DefaultPtrTraitsEiEENS_6detail16IndexBoundsCheckILm5EiEESD_Lm5ESE_iEENS8_INS9_ISB_SC_Lm4ESE_iEESI_SC_Lm5ESE_iEESJ_PSD_iiiiiiiii ; -- Begin function _ZN2at6native12_GLOBAL__N_128conv_depthwise3d_cuda_kernelIN3c108BFloat16EfLin1ELin1ELin1ELi1ELi1ELi1EEEvN5torch10headeronly6detail27GenericPackedTensorAccessorINS7_14TensorAccessorINS3_8ArrayRefIlEEKT_Lm4ENS6_16DefaultPtrTraitsEiEENS_6detail16IndexBoundsCheckILm5EiEESD_Lm5ESE_iEENS8_INS9_ISB_SC_Lm4ESE_iEESI_SC_Lm5ESE_iEESJ_PSD_iiiiiiiii
	.p2align	8
	.type	_ZN2at6native12_GLOBAL__N_128conv_depthwise3d_cuda_kernelIN3c108BFloat16EfLin1ELin1ELin1ELi1ELi1ELi1EEEvN5torch10headeronly6detail27GenericPackedTensorAccessorINS7_14TensorAccessorINS3_8ArrayRefIlEEKT_Lm4ENS6_16DefaultPtrTraitsEiEENS_6detail16IndexBoundsCheckILm5EiEESD_Lm5ESE_iEENS8_INS9_ISB_SC_Lm4ESE_iEESI_SC_Lm5ESE_iEESJ_PSD_iiiiiiiii,@function
_ZN2at6native12_GLOBAL__N_128conv_depthwise3d_cuda_kernelIN3c108BFloat16EfLin1ELin1ELin1ELi1ELi1ELi1EEEvN5torch10headeronly6detail27GenericPackedTensorAccessorINS7_14TensorAccessorINS3_8ArrayRefIlEEKT_Lm4ENS6_16DefaultPtrTraitsEiEENS_6detail16IndexBoundsCheckILm5EiEESD_Lm5ESE_iEENS8_INS9_ISB_SC_Lm4ESE_iEESI_SC_Lm5ESE_iEESJ_PSD_iiiiiiiii: ; @_ZN2at6native12_GLOBAL__N_128conv_depthwise3d_cuda_kernelIN3c108BFloat16EfLin1ELin1ELin1ELi1ELi1ELi1EEEvN5torch10headeronly6detail27GenericPackedTensorAccessorINS7_14TensorAccessorINS3_8ArrayRefIlEEKT_Lm4ENS6_16DefaultPtrTraitsEiEENS_6detail16IndexBoundsCheckILm5EiEESD_Lm5ESE_iEENS8_INS9_ISB_SC_Lm4ESE_iEESI_SC_Lm5ESE_iEESJ_PSD_iiiiiiiii
; %bb.0:
	s_clause 0x2
	s_load_b128 s[4:7], s[0:1], 0xc
	s_load_b32 s2, s[0:1], 0xcc
	s_load_b64 s[28:29], s[0:1], 0x48
	s_bfe_u32 s3, ttmp6, 0x4000c
	s_load_b128 s[8:11], s[0:1], 0x38
	s_add_co_i32 s3, s3, 1
	s_and_b32 s12, ttmp6, 15
	s_mul_i32 s3, ttmp9, s3
	s_getreg_b32 s13, hwreg(HW_REG_IB_STS2, 6, 4)
	v_mov_b32_e32 v1, 0
	s_add_co_i32 s12, s12, s3
	s_mov_b32 s35, 0
	s_wait_kmcnt 0x0
	s_abs_i32 s16, s4
	s_and_b32 s2, s2, 0xffff
	s_cmp_eq_u32 s13, 0
	s_mul_i32 s30, s29, s8
	s_cselect_b32 s3, ttmp9, s12
	s_ashr_i32 s31, s30, 31
	v_mad_nc_u64_u32 v[2:3], s2, s3, v[0:1]
	s_cvt_f32_u32 s3, s16
	s_mov_b32 s8, exec_lo
	s_delay_alu instid0(SALU_CYCLE_2) | instskip(SKIP_1) | instid1(TRANS32_DEP_1)
	v_rcp_iflag_f32_e32 v0, s3
	v_nop
	v_readfirstlane_b32 s3, v0
	s_delay_alu instid0(VALU_DEP_3)
	v_cmpx_gt_i64_e64 s[30:31], v[2:3]
	s_cbranch_execz .LBB10_17
; %bb.1:
	s_mul_f32 s3, s3, 0x4f7ffffe
	s_sub_co_i32 s12, 0, s16
	s_abs_i32 s36, s9
	s_mov_b32 s37, s35
	s_cvt_u32_f32 s8, s3
	s_ashr_i32 s3, s9, 31
	s_ashr_i32 s4, s4, 31
	s_add_nc_u64 s[20:21], s[0:1], 0xc0
	s_mul_i32 s12, s12, s8
	s_xor_b32 s4, s3, s4
	s_mul_hi_u32 s12, s8, s12
	s_cvt_f32_u32 s52, s36
	s_add_co_i32 s34, s8, s12
	s_clause 0x1
	s_load_b128 s[12:15], s[0:1], 0x70
	s_load_b64 s[38:39], s[0:1], 0x90
	s_mul_u64 s[18:19], s[36:37], s[34:35]
	v_rcp_iflag_f32_e32 v5, s52
	s_mul_i32 s8, s19, s16
	s_add_co_i32 s17, s19, 1
	s_sub_co_i32 s8, s36, s8
	s_mov_b32 s59, s35
	s_sub_co_i32 s18, s8, s16
	s_cmp_ge_u32 s8, s16
	s_mov_b32 s61, s35
	s_cselect_b32 s17, s17, s19
	s_cselect_b32 s8, s18, s8
	s_add_co_i32 s18, s17, 1
	s_cmp_ge_u32 s8, s16
	s_mov_b32 s71, s35
	s_cselect_b32 s8, s18, s17
	s_clause 0x1
	s_load_b128 s[16:19], s[0:1], 0x98
	s_load_b64 s[40:41], s[0:1], 0xa8
	s_xor_b32 s8, s8, s4
	s_load_b32 s34, s[20:21], 0x0
	s_sub_co_i32 s60, s8, s4
	s_wait_kmcnt 0x0
	s_cmp_gt_i32 s12, 0
	s_cselect_b32 s4, -1, 0
	s_cmp_gt_i32 s13, 0
	s_cselect_b32 s8, -1, 0
	;; [unrolled: 2-line block ×3, first 2 shown]
	s_sub_co_i32 s20, s6, s13
	s_sub_co_i32 s42, s7, s14
	s_mul_i32 s44, s7, s20
	s_ashr_i32 s43, s42, 31
	s_ashr_i32 s45, s44, 31
	s_cmp_lg_u64 s[38:39], 0
	s_clause 0x1
	s_load_b64 s[46:47], s[0:1], 0x0
	s_load_b128 s[20:23], s[0:1], 0x1c
	s_cselect_b32 s37, -1, 0
	s_abs_i32 s62, s28
	s_abs_i32 s64, s11
	s_cvt_f32_u32 s24, s62
	s_cvt_f32_u32 s53, s64
	s_clause 0x1
	s_load_b32 s63, s[0:1], 0x2c
	s_load_b64 s[48:49], s[0:1], 0x30
	s_abs_i32 s65, s10
	v_rcp_iflag_f32_e32 v0, s24
	v_rcp_iflag_f32_e32 v4, s53
	s_clause 0x1
	s_load_b64 s[50:51], s[0:1], 0x60
	s_load_b128 s[24:27], s[0:1], 0x50
	s_mul_i32 s34, s34, s2
	s_wait_xcnt 0x0
	s_cvt_f32_u32 s1, s65
	s_sub_co_i32 s52, 0, s64
	s_abs_i32 s68, s60
	v_readfirstlane_b32 s0, v0
	v_readfirstlane_b32 s2, v4
	v_rcp_iflag_f32_e32 v0, s1
	s_mov_b32 s53, s35
	s_ashr_i32 s66, s28, 31
	s_mul_f32 s0, s0, 0x4f7ffffe
	s_mul_f32 s1, s2, 0x4f7ffffe
	s_sub_co_i32 s2, 0, s62
	s_ashr_i32 s67, s11, 31
	s_cvt_u32_f32 s0, s0
	s_cvt_u32_f32 s1, s1
	v_nop
	v_readfirstlane_b32 s55, v0
	s_ashr_i32 s69, s10, 31
	s_mul_i32 s2, s2, s0
	s_mul_i32 s54, s52, s1
	s_mul_hi_u32 s2, s0, s2
	s_ashr_i32 s70, s60, 31
	s_add_co_i32 s52, s0, s2
	s_cvt_f32_u32 s2, s68
	s_mul_hi_u32 s0, s1, s54
	s_delay_alu instid0(SALU_CYCLE_1)
	s_add_co_i32 s54, s1, s0
	s_mul_f32 s0, s55, 0x4f7ffffe
	v_rcp_iflag_f32_e32 v0, s2
	v_readfirstlane_b32 s1, v5
	s_sub_co_i32 s2, 0, s65
	s_cvt_u32_f32 s0, s0
	s_mov_b32 s55, s35
	s_mul_f32 s1, s1, 0x4f7ffffe
	s_delay_alu instid0(TRANS32_DEP_1) | instskip(SKIP_1) | instid1(SALU_CYCLE_1)
	v_readfirstlane_b32 s57, v0
	s_mul_i32 s2, s2, s0
	s_mul_hi_u32 s2, s0, s2
	s_cvt_u32_f32 s1, s1
	s_add_co_i32 s56, s0, s2
	s_sub_co_i32 s0, 0, s36
	s_mul_f32 s2, s57, 0x4f7ffffe
	s_mul_i32 s0, s0, s1
	s_mov_b32 s57, s35
	s_mul_hi_u32 s0, s1, s0
	s_cvt_u32_f32 s2, s2
	s_add_co_i32 s58, s1, s0
	s_sub_co_i32 s0, 0, s68
	s_delay_alu instid0(SALU_CYCLE_1) | instskip(NEXT) | instid1(SALU_CYCLE_1)
	s_mul_i32 s0, s0, s2
	s_mul_hi_u32 s0, s2, s0
	s_delay_alu instid0(SALU_CYCLE_1)
	s_add_co_i32 s60, s2, s0
	s_branch .LBB10_3
.LBB10_2:                               ;   in Loop: Header=BB10_3 Depth=1
	v_mul_lo_u32 v4, v11, s29
	s_wait_kmcnt 0x0
	v_mul_lo_u32 v6, s24, v12
	v_mul_lo_u32 v10, s25, v10
	s_wait_xcnt 0x0
	v_mul_lo_u32 v12, s26, v9
	v_mul_lo_u32 v8, s27, v8
	v_bfe_u32 v9, v0, 16, 1
	v_add_nc_u64_e32 v[2:3], s[34:35], v[2:3]
	v_cmp_o_f32_e64 s0, v0, v0
	v_dual_ashrrev_i32 v5, 31, v4 :: v_dual_ashrrev_i32 v7, 31, v6
	v_dual_ashrrev_i32 v11, 31, v10 :: v_dual_ashrrev_i32 v13, 31, v12
	s_delay_alu instid0(VALU_DEP_4) | instskip(NEXT) | instid1(VALU_DEP_3)
	v_cmp_le_i64_e32 vcc_lo, s[30:31], v[2:3]
	v_lshl_add_u64 v[4:5], v[4:5], 1, s[48:49]
	s_delay_alu instid0(VALU_DEP_1) | instskip(SKIP_3) | instid1(VALU_DEP_3)
	v_lshl_add_u64 v[4:5], v[6:7], 1, v[4:5]
	v_add3_u32 v6, v0, v9, 0x7fff
	s_or_b32 s71, vcc_lo, s71
	v_ashrrev_i32_e32 v9, 31, v8
	v_lshl_add_u64 v[4:5], v[10:11], 1, v[4:5]
	s_delay_alu instid0(VALU_DEP_3) | instskip(NEXT) | instid1(VALU_DEP_2)
	v_lshrrev_b32_e32 v6, 16, v6
	v_lshl_add_u64 v[4:5], v[12:13], 1, v[4:5]
	s_delay_alu instid0(VALU_DEP_2) | instskip(NEXT) | instid1(VALU_DEP_2)
	v_cndmask_b32_e64 v0, 0x7fc0, v6, s0
	v_lshl_add_u64 v[4:5], v[8:9], 1, v[4:5]
	global_store_b16 v[4:5], v0, off
	s_wait_xcnt 0x0
	s_and_not1_b32 exec_lo, exec_lo, s71
	s_cbranch_execz .LBB10_17
.LBB10_3:                               ; =>This Loop Header: Depth=1
                                        ;     Child Loop BB10_6 Depth 2
                                        ;       Child Loop BB10_9 Depth 3
                                        ;         Child Loop BB10_12 Depth 4
	v_sub_nc_u32_e32 v0, 0, v2
	s_delay_alu instid0(VALU_DEP_1) | instskip(NEXT) | instid1(VALU_DEP_1)
	v_max_i32_e32 v0, v2, v0
	v_mul_u64_e32 v[4:5], s[52:53], v[0:1]
	s_delay_alu instid0(VALU_DEP_1) | instskip(NEXT) | instid1(VALU_DEP_1)
	v_mul_lo_u32 v4, v5, s62
	v_dual_sub_nc_u32 v0, v0, v4 :: v_dual_add_nc_u32 v4, 1, v5
	s_delay_alu instid0(VALU_DEP_1) | instskip(NEXT) | instid1(VALU_DEP_2)
	v_cmp_le_u32_e32 vcc_lo, s62, v0
	v_cndmask_b32_e32 v4, v5, v4, vcc_lo
	v_subrev_nc_u32_e32 v6, s62, v0
	v_ashrrev_i32_e32 v5, 31, v2
	s_delay_alu instid0(VALU_DEP_2) | instskip(NEXT) | instid1(VALU_DEP_1)
	v_dual_cndmask_b32 v0, v0, v6, vcc_lo :: v_dual_add_nc_u32 v6, 1, v4
	v_cmp_le_u32_e32 vcc_lo, s62, v0
	s_delay_alu instid0(VALU_DEP_2) | instskip(NEXT) | instid1(VALU_DEP_1)
	v_dual_cndmask_b32 v0, v4, v6, vcc_lo :: v_dual_bitop2_b32 v5, s66, v5 bitop3:0x14
	v_xor_b32_e32 v0, v0, v5
	s_delay_alu instid0(VALU_DEP_1) | instskip(NEXT) | instid1(VALU_DEP_1)
	v_sub_nc_u32_e32 v6, v0, v5
	v_sub_nc_u32_e32 v0, 0, v6
	s_delay_alu instid0(VALU_DEP_1) | instskip(NEXT) | instid1(VALU_DEP_1)
	v_max_i32_e32 v0, v6, v0
	v_mul_u64_e32 v[4:5], s[54:55], v[0:1]
	s_delay_alu instid0(VALU_DEP_1) | instskip(NEXT) | instid1(VALU_DEP_1)
	v_mul_lo_u32 v4, v5, s64
	v_dual_sub_nc_u32 v0, v0, v4 :: v_dual_add_nc_u32 v4, 1, v5
	s_delay_alu instid0(VALU_DEP_1) | instskip(SKIP_1) | instid1(VALU_DEP_2)
	v_subrev_nc_u32_e32 v7, s64, v0
	v_cmp_le_u32_e32 vcc_lo, s64, v0
	v_dual_cndmask_b32 v4, v5, v4, vcc_lo :: v_dual_cndmask_b32 v0, v0, v7, vcc_lo
	s_delay_alu instid0(VALU_DEP_1) | instskip(NEXT) | instid1(VALU_DEP_2)
	v_dual_ashrrev_i32 v5, 31, v6 :: v_dual_add_nc_u32 v7, 1, v4
	v_cmp_le_u32_e32 vcc_lo, s64, v0
	s_delay_alu instid0(VALU_DEP_2) | instskip(NEXT) | instid1(VALU_DEP_1)
	v_dual_cndmask_b32 v0, v4, v7, vcc_lo :: v_dual_bitop2_b32 v5, s67, v5 bitop3:0x14
	v_xor_b32_e32 v0, v0, v5
	s_delay_alu instid0(VALU_DEP_1) | instskip(NEXT) | instid1(VALU_DEP_1)
	v_sub_nc_u32_e32 v7, v0, v5
	v_sub_nc_u32_e32 v0, 0, v7
	s_delay_alu instid0(VALU_DEP_1) | instskip(NEXT) | instid1(VALU_DEP_1)
	v_max_i32_e32 v0, v7, v0
	v_mul_u64_e32 v[4:5], s[56:57], v[0:1]
	s_delay_alu instid0(VALU_DEP_1) | instskip(NEXT) | instid1(VALU_DEP_1)
	v_mul_lo_u32 v4, v5, s65
	v_dual_sub_nc_u32 v0, v0, v4 :: v_dual_add_nc_u32 v4, 1, v5
	s_delay_alu instid0(VALU_DEP_1) | instskip(SKIP_1) | instid1(VALU_DEP_3)
	v_subrev_nc_u32_e32 v8, s65, v0
	v_cmp_le_u32_e32 vcc_lo, s65, v0
	v_dual_cndmask_b32 v4, v5, v4 :: v_dual_ashrrev_i32 v5, 31, v7
	s_delay_alu instid0(VALU_DEP_1) | instskip(NEXT) | instid1(VALU_DEP_2)
	v_dual_cndmask_b32 v0, v0, v8, vcc_lo :: v_dual_bitop2_b32 v5, s69, v5 bitop3:0x14
	v_add_nc_u32_e32 v8, 1, v4
	s_delay_alu instid0(VALU_DEP_2) | instskip(NEXT) | instid1(VALU_DEP_2)
	v_cmp_le_u32_e32 vcc_lo, s65, v0
	v_cndmask_b32_e32 v0, v4, v8, vcc_lo
	s_delay_alu instid0(VALU_DEP_1) | instskip(NEXT) | instid1(VALU_DEP_1)
	v_xor_b32_e32 v0, v0, v5
	v_sub_nc_u32_e32 v12, v0, v5
	s_delay_alu instid0(VALU_DEP_1) | instskip(NEXT) | instid1(VALU_DEP_1)
	v_sub_nc_u32_e32 v0, 0, v12
	v_max_i32_e32 v0, v12, v0
	s_delay_alu instid0(VALU_DEP_1) | instskip(NEXT) | instid1(VALU_DEP_1)
	v_mul_u64_e32 v[4:5], s[58:59], v[0:1]
	v_mul_lo_u32 v4, v5, s36
	s_delay_alu instid0(VALU_DEP_1) | instskip(NEXT) | instid1(VALU_DEP_1)
	v_dual_sub_nc_u32 v0, v0, v4 :: v_dual_add_nc_u32 v4, 1, v5
	v_subrev_nc_u32_e32 v8, s36, v0
	v_cmp_le_u32_e32 vcc_lo, s36, v0
	s_delay_alu instid0(VALU_DEP_3) | instskip(SKIP_1) | instid1(VALU_DEP_1)
	v_cndmask_b32_e32 v4, v5, v4, vcc_lo
	v_ashrrev_i32_e32 v5, 31, v12
	v_dual_cndmask_b32 v0, v0, v8, vcc_lo :: v_dual_bitop2_b32 v5, s3, v5 bitop3:0x14
	s_delay_alu instid0(VALU_DEP_3) | instskip(NEXT) | instid1(VALU_DEP_2)
	v_add_nc_u32_e32 v8, 1, v4
	v_cmp_le_u32_e32 vcc_lo, s36, v0
	s_delay_alu instid0(VALU_DEP_2) | instskip(SKIP_2) | instid1(VALU_DEP_2)
	v_cndmask_b32_e32 v0, v4, v8, vcc_lo
	v_mul_lo_u32 v4, v7, s11
	s_and_not1_b32 vcc_lo, exec_lo, s4
	v_xor_b32_e32 v0, v0, v5
	s_delay_alu instid0(VALU_DEP_1) | instskip(SKIP_2) | instid1(VALU_DEP_2)
	v_sub_nc_u32_e32 v11, v0, v5
	v_mul_lo_u32 v0, v6, s28
	v_mul_lo_u32 v5, v12, s10
	v_sub_nc_u32_e32 v8, v2, v0
	s_delay_alu instid0(VALU_DEP_4) | instskip(NEXT) | instid1(VALU_DEP_3)
	v_mul_lo_u32 v13, v11, s9
	v_dual_sub_nc_u32 v9, v6, v4 :: v_dual_sub_nc_u32 v10, v7, v5
	s_delay_alu instid0(VALU_DEP_2)
	v_sub_nc_u32_e32 v12, v12, v13
	s_cbranch_vccnz .LBB10_14
; %bb.4:                                ;   in Loop: Header=BB10_3 Depth=1
	s_delay_alu instid0(VALU_DEP_1) | instskip(NEXT) | instid1(VALU_DEP_3)
	v_sub_nc_u32_e32 v0, 0, v12
	v_mul_lo_u32 v7, v9, s17
	v_mul_lo_u32 v15, v8, s18
	;; [unrolled: 1-line block ×3, first 2 shown]
	s_mov_b32 s72, 0
	v_max_i32_e32 v0, v12, v0
	s_delay_alu instid0(VALU_DEP_1) | instskip(SKIP_3) | instid1(VALU_DEP_2)
	v_mul_u64_e32 v[4:5], s[60:61], v[0:1]
	v_subrev_nc_u32_e32 v14, s40, v7
	v_subrev_nc_u32_e32 v15, s41, v15
	s_wait_kmcnt 0x0
	v_mul_lo_u32 v18, s23, v14
	s_delay_alu instid0(VALU_DEP_2) | instskip(NEXT) | instid1(VALU_DEP_2)
	v_mul_lo_u32 v22, s63, v15
	v_dual_ashrrev_i32 v21, 31, v20 :: v_dual_ashrrev_i32 v19, 31, v18
	s_delay_alu instid0(VALU_DEP_2) | instskip(SKIP_1) | instid1(VALU_DEP_1)
	v_ashrrev_i32_e32 v23, 31, v22
	v_mul_lo_u32 v4, v5, s68
	v_dual_sub_nc_u32 v0, v0, v4 :: v_dual_add_nc_u32 v4, 1, v5
	s_delay_alu instid0(VALU_DEP_1) | instskip(NEXT) | instid1(VALU_DEP_2)
	v_cmp_le_u32_e32 vcc_lo, s68, v0
	v_cndmask_b32_e32 v4, v5, v4, vcc_lo
	v_subrev_nc_u32_e32 v6, s68, v0
	s_delay_alu instid0(VALU_DEP_1) | instskip(NEXT) | instid1(VALU_DEP_1)
	v_dual_cndmask_b32 v0, v0, v6 :: v_dual_ashrrev_i32 v5, 31, v12
	v_dual_add_nc_u32 v6, 1, v4 :: v_dual_bitop2_b32 v5, s70, v5 bitop3:0x14
	s_delay_alu instid0(VALU_DEP_2) | instskip(NEXT) | instid1(VALU_DEP_2)
	v_cmp_le_u32_e32 vcc_lo, s68, v0
	v_cndmask_b32_e32 v0, v4, v6, vcc_lo
	v_mul_lo_u32 v6, v10, s16
	v_mul_lo_u32 v4, s20, v11
	s_delay_alu instid0(VALU_DEP_2) | instskip(NEXT) | instid1(VALU_DEP_1)
	v_subrev_nc_u32_e32 v13, s19, v6
	v_mul_lo_u32 v16, s22, v13
	s_delay_alu instid0(VALU_DEP_1) | instskip(NEXT) | instid1(VALU_DEP_1)
	v_dual_ashrrev_i32 v17, 31, v16 :: v_dual_bitop2_b32 v0, v0, v5 bitop3:0x14
	v_dual_sub_nc_u32 v0, v0, v5 :: v_dual_ashrrev_i32 v5, 31, v4
	s_delay_alu instid0(VALU_DEP_1) | instskip(NEXT) | instid1(VALU_DEP_2)
	v_mul_lo_u32 v6, s21, v0
	v_lshl_add_u64 v[4:5], v[4:5], 1, s[46:47]
	s_delay_alu instid0(VALU_DEP_2) | instskip(NEXT) | instid1(VALU_DEP_1)
	v_dual_mov_b32 v0, 0 :: v_dual_ashrrev_i32 v7, 31, v6
	v_lshl_add_u64 v[4:5], v[6:7], 1, v[4:5]
	s_delay_alu instid0(VALU_DEP_1) | instskip(NEXT) | instid1(VALU_DEP_1)
	v_lshl_add_u64 v[4:5], v[16:17], 1, v[4:5]
	v_lshl_add_u64 v[6:7], v[18:19], 1, v[4:5]
	v_lshl_add_u64 v[4:5], v[20:21], 1, s[50:51]
	s_delay_alu instid0(VALU_DEP_2)
	v_lshl_add_u64 v[6:7], v[22:23], 1, v[6:7]
	s_branch .LBB10_6
.LBB10_5:                               ;   in Loop: Header=BB10_6 Depth=2
	s_delay_alu instid0(VALU_DEP_1) | instskip(SKIP_1) | instid1(SALU_CYCLE_1)
	v_lshl_add_u64 v[6:7], s[44:45], 1, v[6:7]
	s_add_co_i32 s72, s72, 1
	s_cmp_eq_u32 s72, s12
	s_cbranch_scc1 .LBB10_15
.LBB10_6:                               ;   Parent Loop BB10_3 Depth=1
                                        ; =>  This Loop Header: Depth=2
                                        ;       Child Loop BB10_9 Depth 3
                                        ;         Child Loop BB10_12 Depth 4
	s_and_not1_b32 vcc_lo, exec_lo, s8
	s_cbranch_vccnz .LBB10_5
; %bb.7:                                ;   in Loop: Header=BB10_6 Depth=2
	v_add_nc_u32_e32 v16, s72, v13
	s_mov_b32 s73, 0
	s_delay_alu instid0(VALU_DEP_1)
	v_cmp_lt_i32_e64 s0, -1, v16
	v_cmp_gt_i32_e64 s1, s5, v16
	s_branch .LBB10_9
.LBB10_8:                               ;   in Loop: Header=BB10_9 Depth=3
	s_delay_alu instid0(VALU_DEP_2) | instskip(SKIP_1) | instid1(SALU_CYCLE_1)
	v_lshl_add_u64 v[6:7], s[42:43], 1, v[6:7]
	s_add_co_i32 s73, s73, 1
	s_cmp_eq_u32 s73, s13
	s_cbranch_scc1 .LBB10_5
.LBB10_9:                               ;   Parent Loop BB10_3 Depth=1
                                        ;     Parent Loop BB10_6 Depth=2
                                        ; =>    This Loop Header: Depth=3
                                        ;         Child Loop BB10_12 Depth 4
	s_and_not1_b32 vcc_lo, exec_lo, s33
	s_cbranch_vccnz .LBB10_8
; %bb.10:                               ;   in Loop: Header=BB10_9 Depth=3
	v_dual_mov_b32 v16, v15 :: v_dual_add_nc_u32 v17, s73, v14
	s_mov_b32 s75, s14
	s_delay_alu instid0(VALU_DEP_1)
	v_cmp_lt_i32_e64 s2, -1, v17
	v_cmp_gt_i32_e32 vcc_lo, s6, v17
	s_and_b32 s74, s0, s2
	s_branch .LBB10_12
.LBB10_11:                              ;   in Loop: Header=BB10_12 Depth=4
	s_wait_xcnt 0x0
	s_or_b32 exec_lo, exec_lo, s2
	v_add_nc_u64_e32 v[4:5], 2, v[4:5]
	v_add_nc_u64_e32 v[6:7], 2, v[6:7]
	v_add_nc_u32_e32 v16, 1, v16
	s_add_co_i32 s75, s75, -1
	s_delay_alu instid0(SALU_CYCLE_1)
	s_cmp_eq_u32 s75, 0
	s_cbranch_scc1 .LBB10_8
.LBB10_12:                              ;   Parent Loop BB10_3 Depth=1
                                        ;     Parent Loop BB10_6 Depth=2
                                        ;       Parent Loop BB10_9 Depth=3
                                        ; =>      This Inner Loop Header: Depth=4
	s_delay_alu instid0(VALU_DEP_1) | instskip(SKIP_3) | instid1(SALU_CYCLE_1)
	v_cmp_lt_i32_e64 s2, -1, v16
	s_and_b32 s76, s74, s2
	v_cmp_gt_i32_e64 s2, s7, v16
	s_and_b32 s76, s76, s1
	s_and_b32 s76, s76, vcc_lo
	s_delay_alu instid0(SALU_CYCLE_1) | instskip(NEXT) | instid1(SALU_CYCLE_1)
	s_and_b32 s76, s76, s2
	s_and_saveexec_b32 s2, s76
	s_cbranch_execz .LBB10_11
; %bb.13:                               ;   in Loop: Header=BB10_12 Depth=4
	global_load_u16 v17, v[4:5], off
	global_load_u16 v18, v[6:7], off
	s_wait_loadcnt 0x0
	v_fma_mix_f32_bf16 v0, v18, v17, v0 op_sel_hi:[1,1,0]
	s_branch .LBB10_11
.LBB10_14:                              ;   in Loop: Header=BB10_3 Depth=1
	v_mov_b32_e32 v0, 0
.LBB10_15:                              ;   in Loop: Header=BB10_3 Depth=1
	s_and_b32 vcc_lo, exec_lo, s37
	s_cbranch_vccz .LBB10_2
; %bb.16:                               ;   in Loop: Header=BB10_3 Depth=1
	global_load_u16 v4, v12, s[38:39] scale_offset
	s_wait_loadcnt 0x0
	v_lshlrev_b32_e32 v4, 16, v4
	s_delay_alu instid0(VALU_DEP_1)
	v_add_f32_e32 v0, v0, v4
	s_branch .LBB10_2
.LBB10_17:
	s_endpgm
	.section	.rodata,"a",@progbits
	.p2align	6, 0x0
	.amdhsa_kernel _ZN2at6native12_GLOBAL__N_128conv_depthwise3d_cuda_kernelIN3c108BFloat16EfLin1ELin1ELin1ELi1ELi1ELi1EEEvN5torch10headeronly6detail27GenericPackedTensorAccessorINS7_14TensorAccessorINS3_8ArrayRefIlEEKT_Lm4ENS6_16DefaultPtrTraitsEiEENS_6detail16IndexBoundsCheckILm5EiEESD_Lm5ESE_iEENS8_INS9_ISB_SC_Lm4ESE_iEESI_SC_Lm5ESE_iEESJ_PSD_iiiiiiiii
		.amdhsa_group_segment_fixed_size 0
		.amdhsa_private_segment_fixed_size 0
		.amdhsa_kernarg_size 448
		.amdhsa_user_sgpr_count 2
		.amdhsa_user_sgpr_dispatch_ptr 0
		.amdhsa_user_sgpr_queue_ptr 0
		.amdhsa_user_sgpr_kernarg_segment_ptr 1
		.amdhsa_user_sgpr_dispatch_id 0
		.amdhsa_user_sgpr_kernarg_preload_length 0
		.amdhsa_user_sgpr_kernarg_preload_offset 0
		.amdhsa_user_sgpr_private_segment_size 0
		.amdhsa_wavefront_size32 1
		.amdhsa_uses_dynamic_stack 0
		.amdhsa_enable_private_segment 0
		.amdhsa_system_sgpr_workgroup_id_x 1
		.amdhsa_system_sgpr_workgroup_id_y 0
		.amdhsa_system_sgpr_workgroup_id_z 0
		.amdhsa_system_sgpr_workgroup_info 0
		.amdhsa_system_vgpr_workitem_id 0
		.amdhsa_next_free_vgpr 24
		.amdhsa_next_free_sgpr 77
		.amdhsa_named_barrier_count 0
		.amdhsa_reserve_vcc 1
		.amdhsa_float_round_mode_32 0
		.amdhsa_float_round_mode_16_64 0
		.amdhsa_float_denorm_mode_32 3
		.amdhsa_float_denorm_mode_16_64 3
		.amdhsa_fp16_overflow 0
		.amdhsa_memory_ordered 1
		.amdhsa_forward_progress 1
		.amdhsa_inst_pref_size 16
		.amdhsa_round_robin_scheduling 0
		.amdhsa_exception_fp_ieee_invalid_op 0
		.amdhsa_exception_fp_denorm_src 0
		.amdhsa_exception_fp_ieee_div_zero 0
		.amdhsa_exception_fp_ieee_overflow 0
		.amdhsa_exception_fp_ieee_underflow 0
		.amdhsa_exception_fp_ieee_inexact 0
		.amdhsa_exception_int_div_zero 0
	.end_amdhsa_kernel
	.section	.text._ZN2at6native12_GLOBAL__N_128conv_depthwise3d_cuda_kernelIN3c108BFloat16EfLin1ELin1ELin1ELi1ELi1ELi1EEEvN5torch10headeronly6detail27GenericPackedTensorAccessorINS7_14TensorAccessorINS3_8ArrayRefIlEEKT_Lm4ENS6_16DefaultPtrTraitsEiEENS_6detail16IndexBoundsCheckILm5EiEESD_Lm5ESE_iEENS8_INS9_ISB_SC_Lm4ESE_iEESI_SC_Lm5ESE_iEESJ_PSD_iiiiiiiii,"axG",@progbits,_ZN2at6native12_GLOBAL__N_128conv_depthwise3d_cuda_kernelIN3c108BFloat16EfLin1ELin1ELin1ELi1ELi1ELi1EEEvN5torch10headeronly6detail27GenericPackedTensorAccessorINS7_14TensorAccessorINS3_8ArrayRefIlEEKT_Lm4ENS6_16DefaultPtrTraitsEiEENS_6detail16IndexBoundsCheckILm5EiEESD_Lm5ESE_iEENS8_INS9_ISB_SC_Lm4ESE_iEESI_SC_Lm5ESE_iEESJ_PSD_iiiiiiiii,comdat
.Lfunc_end10:
	.size	_ZN2at6native12_GLOBAL__N_128conv_depthwise3d_cuda_kernelIN3c108BFloat16EfLin1ELin1ELin1ELi1ELi1ELi1EEEvN5torch10headeronly6detail27GenericPackedTensorAccessorINS7_14TensorAccessorINS3_8ArrayRefIlEEKT_Lm4ENS6_16DefaultPtrTraitsEiEENS_6detail16IndexBoundsCheckILm5EiEESD_Lm5ESE_iEENS8_INS9_ISB_SC_Lm4ESE_iEESI_SC_Lm5ESE_iEESJ_PSD_iiiiiiiii, .Lfunc_end10-_ZN2at6native12_GLOBAL__N_128conv_depthwise3d_cuda_kernelIN3c108BFloat16EfLin1ELin1ELin1ELi1ELi1ELi1EEEvN5torch10headeronly6detail27GenericPackedTensorAccessorINS7_14TensorAccessorINS3_8ArrayRefIlEEKT_Lm4ENS6_16DefaultPtrTraitsEiEENS_6detail16IndexBoundsCheckILm5EiEESD_Lm5ESE_iEENS8_INS9_ISB_SC_Lm4ESE_iEESI_SC_Lm5ESE_iEESJ_PSD_iiiiiiiii
                                        ; -- End function
	.set _ZN2at6native12_GLOBAL__N_128conv_depthwise3d_cuda_kernelIN3c108BFloat16EfLin1ELin1ELin1ELi1ELi1ELi1EEEvN5torch10headeronly6detail27GenericPackedTensorAccessorINS7_14TensorAccessorINS3_8ArrayRefIlEEKT_Lm4ENS6_16DefaultPtrTraitsEiEENS_6detail16IndexBoundsCheckILm5EiEESD_Lm5ESE_iEENS8_INS9_ISB_SC_Lm4ESE_iEESI_SC_Lm5ESE_iEESJ_PSD_iiiiiiiii.num_vgpr, 24
	.set _ZN2at6native12_GLOBAL__N_128conv_depthwise3d_cuda_kernelIN3c108BFloat16EfLin1ELin1ELin1ELi1ELi1ELi1EEEvN5torch10headeronly6detail27GenericPackedTensorAccessorINS7_14TensorAccessorINS3_8ArrayRefIlEEKT_Lm4ENS6_16DefaultPtrTraitsEiEENS_6detail16IndexBoundsCheckILm5EiEESD_Lm5ESE_iEENS8_INS9_ISB_SC_Lm4ESE_iEESI_SC_Lm5ESE_iEESJ_PSD_iiiiiiiii.num_agpr, 0
	.set _ZN2at6native12_GLOBAL__N_128conv_depthwise3d_cuda_kernelIN3c108BFloat16EfLin1ELin1ELin1ELi1ELi1ELi1EEEvN5torch10headeronly6detail27GenericPackedTensorAccessorINS7_14TensorAccessorINS3_8ArrayRefIlEEKT_Lm4ENS6_16DefaultPtrTraitsEiEENS_6detail16IndexBoundsCheckILm5EiEESD_Lm5ESE_iEENS8_INS9_ISB_SC_Lm4ESE_iEESI_SC_Lm5ESE_iEESJ_PSD_iiiiiiiii.numbered_sgpr, 77
	.set _ZN2at6native12_GLOBAL__N_128conv_depthwise3d_cuda_kernelIN3c108BFloat16EfLin1ELin1ELin1ELi1ELi1ELi1EEEvN5torch10headeronly6detail27GenericPackedTensorAccessorINS7_14TensorAccessorINS3_8ArrayRefIlEEKT_Lm4ENS6_16DefaultPtrTraitsEiEENS_6detail16IndexBoundsCheckILm5EiEESD_Lm5ESE_iEENS8_INS9_ISB_SC_Lm4ESE_iEESI_SC_Lm5ESE_iEESJ_PSD_iiiiiiiii.num_named_barrier, 0
	.set _ZN2at6native12_GLOBAL__N_128conv_depthwise3d_cuda_kernelIN3c108BFloat16EfLin1ELin1ELin1ELi1ELi1ELi1EEEvN5torch10headeronly6detail27GenericPackedTensorAccessorINS7_14TensorAccessorINS3_8ArrayRefIlEEKT_Lm4ENS6_16DefaultPtrTraitsEiEENS_6detail16IndexBoundsCheckILm5EiEESD_Lm5ESE_iEENS8_INS9_ISB_SC_Lm4ESE_iEESI_SC_Lm5ESE_iEESJ_PSD_iiiiiiiii.private_seg_size, 0
	.set _ZN2at6native12_GLOBAL__N_128conv_depthwise3d_cuda_kernelIN3c108BFloat16EfLin1ELin1ELin1ELi1ELi1ELi1EEEvN5torch10headeronly6detail27GenericPackedTensorAccessorINS7_14TensorAccessorINS3_8ArrayRefIlEEKT_Lm4ENS6_16DefaultPtrTraitsEiEENS_6detail16IndexBoundsCheckILm5EiEESD_Lm5ESE_iEENS8_INS9_ISB_SC_Lm4ESE_iEESI_SC_Lm5ESE_iEESJ_PSD_iiiiiiiii.uses_vcc, 1
	.set _ZN2at6native12_GLOBAL__N_128conv_depthwise3d_cuda_kernelIN3c108BFloat16EfLin1ELin1ELin1ELi1ELi1ELi1EEEvN5torch10headeronly6detail27GenericPackedTensorAccessorINS7_14TensorAccessorINS3_8ArrayRefIlEEKT_Lm4ENS6_16DefaultPtrTraitsEiEENS_6detail16IndexBoundsCheckILm5EiEESD_Lm5ESE_iEENS8_INS9_ISB_SC_Lm4ESE_iEESI_SC_Lm5ESE_iEESJ_PSD_iiiiiiiii.uses_flat_scratch, 0
	.set _ZN2at6native12_GLOBAL__N_128conv_depthwise3d_cuda_kernelIN3c108BFloat16EfLin1ELin1ELin1ELi1ELi1ELi1EEEvN5torch10headeronly6detail27GenericPackedTensorAccessorINS7_14TensorAccessorINS3_8ArrayRefIlEEKT_Lm4ENS6_16DefaultPtrTraitsEiEENS_6detail16IndexBoundsCheckILm5EiEESD_Lm5ESE_iEENS8_INS9_ISB_SC_Lm4ESE_iEESI_SC_Lm5ESE_iEESJ_PSD_iiiiiiiii.has_dyn_sized_stack, 0
	.set _ZN2at6native12_GLOBAL__N_128conv_depthwise3d_cuda_kernelIN3c108BFloat16EfLin1ELin1ELin1ELi1ELi1ELi1EEEvN5torch10headeronly6detail27GenericPackedTensorAccessorINS7_14TensorAccessorINS3_8ArrayRefIlEEKT_Lm4ENS6_16DefaultPtrTraitsEiEENS_6detail16IndexBoundsCheckILm5EiEESD_Lm5ESE_iEENS8_INS9_ISB_SC_Lm4ESE_iEESI_SC_Lm5ESE_iEESJ_PSD_iiiiiiiii.has_recursion, 0
	.set _ZN2at6native12_GLOBAL__N_128conv_depthwise3d_cuda_kernelIN3c108BFloat16EfLin1ELin1ELin1ELi1ELi1ELi1EEEvN5torch10headeronly6detail27GenericPackedTensorAccessorINS7_14TensorAccessorINS3_8ArrayRefIlEEKT_Lm4ENS6_16DefaultPtrTraitsEiEENS_6detail16IndexBoundsCheckILm5EiEESD_Lm5ESE_iEENS8_INS9_ISB_SC_Lm4ESE_iEESI_SC_Lm5ESE_iEESJ_PSD_iiiiiiiii.has_indirect_call, 0
	.section	.AMDGPU.csdata,"",@progbits
; Kernel info:
; codeLenInByte = 2044
; TotalNumSgprs: 79
; NumVgprs: 24
; ScratchSize: 0
; MemoryBound: 0
; FloatMode: 240
; IeeeMode: 1
; LDSByteSize: 0 bytes/workgroup (compile time only)
; SGPRBlocks: 0
; VGPRBlocks: 1
; NumSGPRsForWavesPerEU: 79
; NumVGPRsForWavesPerEU: 24
; NamedBarCnt: 0
; Occupancy: 16
; WaveLimiterHint : 0
; COMPUTE_PGM_RSRC2:SCRATCH_EN: 0
; COMPUTE_PGM_RSRC2:USER_SGPR: 2
; COMPUTE_PGM_RSRC2:TRAP_HANDLER: 0
; COMPUTE_PGM_RSRC2:TGID_X_EN: 1
; COMPUTE_PGM_RSRC2:TGID_Y_EN: 0
; COMPUTE_PGM_RSRC2:TGID_Z_EN: 0
; COMPUTE_PGM_RSRC2:TIDIG_COMP_CNT: 0
	.section	.text._ZN2at6native12_GLOBAL__N_128conv_depthwise3d_cuda_kernelIN3c108BFloat16EfLin1ELin1ELin1ELin1ELin1ELin1EEEvN5torch10headeronly6detail27GenericPackedTensorAccessorINS7_14TensorAccessorINS3_8ArrayRefIlEEKT_Lm4ENS6_16DefaultPtrTraitsEiEENS_6detail16IndexBoundsCheckILm5EiEESD_Lm5ESE_iEENS8_INS9_ISB_SC_Lm4ESE_iEESI_SC_Lm5ESE_iEESJ_PSD_iiiiiiiii,"axG",@progbits,_ZN2at6native12_GLOBAL__N_128conv_depthwise3d_cuda_kernelIN3c108BFloat16EfLin1ELin1ELin1ELin1ELin1ELin1EEEvN5torch10headeronly6detail27GenericPackedTensorAccessorINS7_14TensorAccessorINS3_8ArrayRefIlEEKT_Lm4ENS6_16DefaultPtrTraitsEiEENS_6detail16IndexBoundsCheckILm5EiEESD_Lm5ESE_iEENS8_INS9_ISB_SC_Lm4ESE_iEESI_SC_Lm5ESE_iEESJ_PSD_iiiiiiiii,comdat
	.globl	_ZN2at6native12_GLOBAL__N_128conv_depthwise3d_cuda_kernelIN3c108BFloat16EfLin1ELin1ELin1ELin1ELin1ELin1EEEvN5torch10headeronly6detail27GenericPackedTensorAccessorINS7_14TensorAccessorINS3_8ArrayRefIlEEKT_Lm4ENS6_16DefaultPtrTraitsEiEENS_6detail16IndexBoundsCheckILm5EiEESD_Lm5ESE_iEENS8_INS9_ISB_SC_Lm4ESE_iEESI_SC_Lm5ESE_iEESJ_PSD_iiiiiiiii ; -- Begin function _ZN2at6native12_GLOBAL__N_128conv_depthwise3d_cuda_kernelIN3c108BFloat16EfLin1ELin1ELin1ELin1ELin1ELin1EEEvN5torch10headeronly6detail27GenericPackedTensorAccessorINS7_14TensorAccessorINS3_8ArrayRefIlEEKT_Lm4ENS6_16DefaultPtrTraitsEiEENS_6detail16IndexBoundsCheckILm5EiEESD_Lm5ESE_iEENS8_INS9_ISB_SC_Lm4ESE_iEESI_SC_Lm5ESE_iEESJ_PSD_iiiiiiiii
	.p2align	8
	.type	_ZN2at6native12_GLOBAL__N_128conv_depthwise3d_cuda_kernelIN3c108BFloat16EfLin1ELin1ELin1ELin1ELin1ELin1EEEvN5torch10headeronly6detail27GenericPackedTensorAccessorINS7_14TensorAccessorINS3_8ArrayRefIlEEKT_Lm4ENS6_16DefaultPtrTraitsEiEENS_6detail16IndexBoundsCheckILm5EiEESD_Lm5ESE_iEENS8_INS9_ISB_SC_Lm4ESE_iEESI_SC_Lm5ESE_iEESJ_PSD_iiiiiiiii,@function
_ZN2at6native12_GLOBAL__N_128conv_depthwise3d_cuda_kernelIN3c108BFloat16EfLin1ELin1ELin1ELin1ELin1ELin1EEEvN5torch10headeronly6detail27GenericPackedTensorAccessorINS7_14TensorAccessorINS3_8ArrayRefIlEEKT_Lm4ENS6_16DefaultPtrTraitsEiEENS_6detail16IndexBoundsCheckILm5EiEESD_Lm5ESE_iEENS8_INS9_ISB_SC_Lm4ESE_iEESI_SC_Lm5ESE_iEESJ_PSD_iiiiiiiii: ; @_ZN2at6native12_GLOBAL__N_128conv_depthwise3d_cuda_kernelIN3c108BFloat16EfLin1ELin1ELin1ELin1ELin1ELin1EEEvN5torch10headeronly6detail27GenericPackedTensorAccessorINS7_14TensorAccessorINS3_8ArrayRefIlEEKT_Lm4ENS6_16DefaultPtrTraitsEiEENS_6detail16IndexBoundsCheckILm5EiEESD_Lm5ESE_iEENS8_INS9_ISB_SC_Lm4ESE_iEESI_SC_Lm5ESE_iEESJ_PSD_iiiiiiiii
; %bb.0:
	s_clause 0x2
	s_load_b128 s[12:15], s[0:1], 0xc
	s_load_b32 s2, s[0:1], 0xcc
	s_load_b64 s[34:35], s[0:1], 0x48
	s_bfe_u32 s3, ttmp6, 0x4000c
	s_load_b128 s[16:19], s[0:1], 0x38
	s_add_co_i32 s3, s3, 1
	s_and_b32 s4, ttmp6, 15
	s_mul_i32 s3, ttmp9, s3
	s_getreg_b32 s5, hwreg(HW_REG_IB_STS2, 6, 4)
	v_mov_b32_e32 v1, 0
	s_add_co_i32 s4, s4, s3
	s_mov_b32 s39, 0
	s_wait_kmcnt 0x0
	s_abs_i32 s24, s12
	s_and_b32 s2, s2, 0xffff
	s_cmp_eq_u32 s5, 0
	s_mul_i32 s36, s35, s16
	s_cselect_b32 s3, ttmp9, s4
	s_ashr_i32 s37, s36, 31
	v_mad_nc_u64_u32 v[2:3], s2, s3, v[0:1]
	s_cvt_f32_u32 s3, s24
	s_mov_b32 s4, exec_lo
	s_delay_alu instid0(SALU_CYCLE_2) | instskip(SKIP_1) | instid1(TRANS32_DEP_1)
	v_rcp_iflag_f32_e32 v0, s3
	v_nop
	v_readfirstlane_b32 s3, v0
	s_delay_alu instid0(VALU_DEP_3)
	v_cmpx_gt_i64_e64 s[36:37], v[2:3]
	s_cbranch_execz .LBB11_17
; %bb.1:
	s_mul_f32 s3, s3, 0x4f7ffffe
	s_sub_co_i32 s4, 0, s24
	s_abs_i32 s40, s17
	s_mov_b32 s41, s39
	s_cvt_u32_f32 s16, s3
	s_ashr_i32 s3, s17, 31
	s_ashr_i32 s12, s12, 31
	s_load_b32 s42, s[0:1], 0xb8
	s_mul_i32 s4, s4, s16
	s_xor_b32 s12, s3, s12
	s_mul_hi_u32 s20, s16, s4
	s_load_b256 s[4:11], s[0:1], 0x98
	s_add_co_i32 s38, s16, s20
	s_clause 0x1
	s_load_b128 s[20:23], s[0:1], 0x70
	s_load_b64 s[44:45], s[0:1], 0x90
	s_mul_u64 s[26:27], s[40:41], s[38:39]
	s_mov_b32 s59, s39
	s_mul_i32 s16, s27, s24
	s_add_co_i32 s25, s27, 1
	s_sub_co_i32 s16, s40, s16
	s_mov_b32 s65, s39
	s_sub_co_i32 s26, s16, s24
	s_cmp_ge_u32 s16, s24
	s_cselect_b32 s25, s25, s27
	s_cselect_b32 s16, s26, s16
	s_add_co_i32 s26, s25, 1
	s_cmp_ge_u32 s16, s24
	s_cselect_b32 s16, s26, s25
	s_add_nc_u64 s[24:25], s[0:1], 0xc0
	s_xor_b32 s16, s16, s12
	s_load_b32 s38, s[24:25], 0x0
	s_sub_co_i32 s64, s16, s12
	s_wait_kmcnt 0x0
	s_cmp_gt_i32 s20, 0
	s_mul_i32 s25, s14, s10
	s_cselect_b32 s12, -1, 0
	s_cmp_gt_i32 s21, 0
	s_mul_i32 s26, s21, s11
	s_cselect_b32 s16, -1, 0
	;; [unrolled: 3-line block ×3, first 2 shown]
	s_mul_i32 s27, s22, s42
	s_sub_co_i32 s25, s25, s26
	s_sub_co_i32 s46, s24, s27
	s_mul_i32 s48, s25, s15
	s_ashr_i32 s43, s42, 31
	s_ashr_i32 s47, s46, 31
	;; [unrolled: 1-line block ×3, first 2 shown]
	s_cmp_lg_u64 s[44:45], 0
	s_cselect_b32 s41, -1, 0
	s_abs_i32 s68, s34
	s_abs_i32 s69, s19
	s_cvt_f32_u32 s24, s68
	s_cvt_f32_u32 s28, s69
	s_abs_i32 s71, s18
	s_mul_i32 s38, s38, s2
	v_rcp_iflag_f32_e32 v0, s24
	v_rcp_iflag_f32_e32 v4, s28
	s_clause 0x5
	s_load_b64 s[50:51], s[0:1], 0x0
	s_load_b128 s[24:27], s[0:1], 0x1c
	s_load_b32 s70, s[0:1], 0x2c
	s_load_b64 s[52:53], s[0:1], 0x30
	s_load_b64 s[54:55], s[0:1], 0x60
	s_load_b128 s[28:31], s[0:1], 0x50
	s_cvt_f32_u32 s2, s71
	s_sub_co_i32 s57, 0, s68
	s_wait_xcnt 0x0
	s_cvt_f32_u32 s0, s40
	v_readfirstlane_b32 s56, v0
	v_rcp_iflag_f32_e32 v0, s2
	s_abs_i32 s73, s64
	s_sub_co_i32 s58, 0, s69
	s_sub_co_i32 s63, 0, s73
	s_mul_f32 s1, s56, 0x4f7ffffe
	v_readfirstlane_b32 s56, v4
	s_ashr_i32 s72, s34, 31
	s_ashr_i32 s74, s19, 31
	s_cvt_u32_f32 s1, s1
	s_ashr_i32 s75, s18, 31
	s_mul_f32 s2, s56, 0x4f7ffffe
	s_ashr_i32 s76, s64, 31
	s_mul_i32 s57, s57, s1
	s_lshl_b64 s[66:67], s[42:43], 1
	s_mul_hi_u32 s56, s1, s57
	s_cvt_u32_f32 s2, s2
	s_add_co_i32 s56, s1, s56
	v_readfirstlane_b32 s1, v0
	v_rcp_iflag_f32_e32 v0, s0
	s_mul_i32 s58, s58, s2
	s_mov_b32 s57, s39
	s_mul_hi_u32 s58, s2, s58
	s_mul_f32 s0, s1, 0x4f7ffffe
	s_cvt_f32_u32 s1, s73
	s_add_co_i32 s58, s2, s58
	s_sub_co_i32 s2, 0, s71
	s_cvt_u32_f32 s0, s0
	v_rcp_iflag_f32_e32 v4, s1
	v_nop
	v_readfirstlane_b32 s1, v0
	s_mov_b32 s43, s39
	s_mul_i32 s2, s2, s0
	s_delay_alu instid0(SALU_CYCLE_1)
	s_mul_hi_u32 s2, s0, s2
	s_mul_f32 s1, s1, 0x4f7ffffe
	v_readfirstlane_b32 s61, v4
	s_add_co_i32 s60, s0, s2
	s_sub_co_i32 s2, 0, s40
	s_cvt_u32_f32 s0, s1
	s_mul_f32 s1, s61, 0x4f7ffffe
	s_mov_b32 s61, s39
	s_delay_alu instid0(SALU_CYCLE_1) | instskip(NEXT) | instid1(SALU_CYCLE_1)
	s_mul_i32 s2, s2, s0
	s_cvt_u32_f32 s1, s1
	s_mul_hi_u32 s2, s0, s2
	s_delay_alu instid0(SALU_CYCLE_1) | instskip(NEXT) | instid1(SALU_CYCLE_1)
	s_add_co_i32 s62, s0, s2
	s_mul_i32 s0, s63, s1
	s_mov_b32 s63, s39
	s_mul_hi_u32 s0, s1, s0
	s_delay_alu instid0(SALU_CYCLE_1)
	s_add_co_i32 s64, s1, s0
	s_branch .LBB11_3
.LBB11_2:                               ;   in Loop: Header=BB11_3 Depth=1
	v_mul_lo_u32 v4, v11, s35
	s_wait_kmcnt 0x0
	v_mul_lo_u32 v6, s28, v12
	v_mul_lo_u32 v10, s29, v10
	s_wait_xcnt 0x0
	v_mul_lo_u32 v12, s30, v9
	v_mul_lo_u32 v8, s31, v8
	v_bfe_u32 v9, v0, 16, 1
	v_add_nc_u64_e32 v[2:3], s[38:39], v[2:3]
	v_cmp_o_f32_e64 s0, v0, v0
	v_dual_ashrrev_i32 v5, 31, v4 :: v_dual_ashrrev_i32 v7, 31, v6
	v_dual_ashrrev_i32 v11, 31, v10 :: v_dual_ashrrev_i32 v13, 31, v12
	s_delay_alu instid0(VALU_DEP_4) | instskip(NEXT) | instid1(VALU_DEP_3)
	v_cmp_le_i64_e32 vcc_lo, s[36:37], v[2:3]
	v_lshl_add_u64 v[4:5], v[4:5], 1, s[52:53]
	s_delay_alu instid0(VALU_DEP_1) | instskip(SKIP_3) | instid1(VALU_DEP_3)
	v_lshl_add_u64 v[4:5], v[6:7], 1, v[4:5]
	v_add3_u32 v6, v0, v9, 0x7fff
	s_or_b32 s43, vcc_lo, s43
	v_ashrrev_i32_e32 v9, 31, v8
	v_lshl_add_u64 v[4:5], v[10:11], 1, v[4:5]
	s_delay_alu instid0(VALU_DEP_3) | instskip(NEXT) | instid1(VALU_DEP_2)
	v_lshrrev_b32_e32 v6, 16, v6
	v_lshl_add_u64 v[4:5], v[12:13], 1, v[4:5]
	s_delay_alu instid0(VALU_DEP_2) | instskip(NEXT) | instid1(VALU_DEP_2)
	v_cndmask_b32_e64 v0, 0x7fc0, v6, s0
	v_lshl_add_u64 v[4:5], v[8:9], 1, v[4:5]
	global_store_b16 v[4:5], v0, off
	s_wait_xcnt 0x0
	s_and_not1_b32 exec_lo, exec_lo, s43
	s_cbranch_execz .LBB11_17
.LBB11_3:                               ; =>This Loop Header: Depth=1
                                        ;     Child Loop BB11_6 Depth 2
                                        ;       Child Loop BB11_9 Depth 3
                                        ;         Child Loop BB11_12 Depth 4
	v_sub_nc_u32_e32 v0, 0, v2
	s_delay_alu instid0(VALU_DEP_1) | instskip(NEXT) | instid1(VALU_DEP_1)
	v_max_i32_e32 v0, v2, v0
	v_mul_u64_e32 v[4:5], s[56:57], v[0:1]
	s_delay_alu instid0(VALU_DEP_1) | instskip(NEXT) | instid1(VALU_DEP_1)
	v_mul_lo_u32 v4, v5, s68
	v_dual_sub_nc_u32 v0, v0, v4 :: v_dual_add_nc_u32 v4, 1, v5
	s_delay_alu instid0(VALU_DEP_1) | instskip(NEXT) | instid1(VALU_DEP_2)
	v_cmp_le_u32_e32 vcc_lo, s68, v0
	v_cndmask_b32_e32 v4, v5, v4, vcc_lo
	v_subrev_nc_u32_e32 v6, s68, v0
	v_ashrrev_i32_e32 v5, 31, v2
	s_delay_alu instid0(VALU_DEP_2) | instskip(NEXT) | instid1(VALU_DEP_1)
	v_dual_cndmask_b32 v0, v0, v6, vcc_lo :: v_dual_add_nc_u32 v6, 1, v4
	v_cmp_le_u32_e32 vcc_lo, s68, v0
	s_delay_alu instid0(VALU_DEP_2) | instskip(NEXT) | instid1(VALU_DEP_1)
	v_dual_cndmask_b32 v0, v4, v6, vcc_lo :: v_dual_bitop2_b32 v5, s72, v5 bitop3:0x14
	v_xor_b32_e32 v0, v0, v5
	s_delay_alu instid0(VALU_DEP_1) | instskip(NEXT) | instid1(VALU_DEP_1)
	v_sub_nc_u32_e32 v6, v0, v5
	v_sub_nc_u32_e32 v0, 0, v6
	s_delay_alu instid0(VALU_DEP_1) | instskip(NEXT) | instid1(VALU_DEP_1)
	v_max_i32_e32 v0, v6, v0
	v_mul_u64_e32 v[4:5], s[58:59], v[0:1]
	s_delay_alu instid0(VALU_DEP_1) | instskip(NEXT) | instid1(VALU_DEP_1)
	v_mul_lo_u32 v4, v5, s69
	v_dual_sub_nc_u32 v0, v0, v4 :: v_dual_add_nc_u32 v4, 1, v5
	s_delay_alu instid0(VALU_DEP_1) | instskip(SKIP_1) | instid1(VALU_DEP_2)
	v_subrev_nc_u32_e32 v7, s69, v0
	v_cmp_le_u32_e32 vcc_lo, s69, v0
	v_dual_cndmask_b32 v4, v5, v4, vcc_lo :: v_dual_cndmask_b32 v0, v0, v7, vcc_lo
	s_delay_alu instid0(VALU_DEP_1) | instskip(NEXT) | instid1(VALU_DEP_2)
	v_dual_ashrrev_i32 v5, 31, v6 :: v_dual_add_nc_u32 v7, 1, v4
	v_cmp_le_u32_e32 vcc_lo, s69, v0
	s_delay_alu instid0(VALU_DEP_2) | instskip(NEXT) | instid1(VALU_DEP_1)
	v_dual_cndmask_b32 v0, v4, v7, vcc_lo :: v_dual_bitop2_b32 v5, s74, v5 bitop3:0x14
	v_xor_b32_e32 v0, v0, v5
	s_delay_alu instid0(VALU_DEP_1) | instskip(NEXT) | instid1(VALU_DEP_1)
	v_sub_nc_u32_e32 v7, v0, v5
	v_sub_nc_u32_e32 v0, 0, v7
	s_delay_alu instid0(VALU_DEP_1) | instskip(NEXT) | instid1(VALU_DEP_1)
	v_max_i32_e32 v0, v7, v0
	v_mul_u64_e32 v[4:5], s[60:61], v[0:1]
	s_delay_alu instid0(VALU_DEP_1) | instskip(NEXT) | instid1(VALU_DEP_1)
	v_mul_lo_u32 v4, v5, s71
	v_dual_sub_nc_u32 v0, v0, v4 :: v_dual_add_nc_u32 v4, 1, v5
	s_delay_alu instid0(VALU_DEP_1) | instskip(SKIP_1) | instid1(VALU_DEP_3)
	v_subrev_nc_u32_e32 v8, s71, v0
	v_cmp_le_u32_e32 vcc_lo, s71, v0
	v_dual_cndmask_b32 v4, v5, v4 :: v_dual_ashrrev_i32 v5, 31, v7
	s_delay_alu instid0(VALU_DEP_1) | instskip(NEXT) | instid1(VALU_DEP_2)
	v_dual_cndmask_b32 v0, v0, v8, vcc_lo :: v_dual_bitop2_b32 v5, s75, v5 bitop3:0x14
	v_add_nc_u32_e32 v8, 1, v4
	s_delay_alu instid0(VALU_DEP_2) | instskip(NEXT) | instid1(VALU_DEP_2)
	v_cmp_le_u32_e32 vcc_lo, s71, v0
	v_cndmask_b32_e32 v0, v4, v8, vcc_lo
	s_delay_alu instid0(VALU_DEP_1) | instskip(NEXT) | instid1(VALU_DEP_1)
	v_xor_b32_e32 v0, v0, v5
	v_sub_nc_u32_e32 v12, v0, v5
	s_delay_alu instid0(VALU_DEP_1) | instskip(NEXT) | instid1(VALU_DEP_1)
	v_sub_nc_u32_e32 v0, 0, v12
	v_max_i32_e32 v0, v12, v0
	s_delay_alu instid0(VALU_DEP_1) | instskip(NEXT) | instid1(VALU_DEP_1)
	v_mul_u64_e32 v[4:5], s[62:63], v[0:1]
	v_mul_lo_u32 v4, v5, s40
	s_delay_alu instid0(VALU_DEP_1) | instskip(NEXT) | instid1(VALU_DEP_1)
	v_dual_sub_nc_u32 v0, v0, v4 :: v_dual_add_nc_u32 v4, 1, v5
	v_subrev_nc_u32_e32 v8, s40, v0
	v_cmp_le_u32_e32 vcc_lo, s40, v0
	s_delay_alu instid0(VALU_DEP_3) | instskip(SKIP_1) | instid1(VALU_DEP_1)
	v_cndmask_b32_e32 v4, v5, v4, vcc_lo
	v_ashrrev_i32_e32 v5, 31, v12
	v_dual_cndmask_b32 v0, v0, v8, vcc_lo :: v_dual_bitop2_b32 v5, s3, v5 bitop3:0x14
	s_delay_alu instid0(VALU_DEP_3) | instskip(NEXT) | instid1(VALU_DEP_2)
	v_add_nc_u32_e32 v8, 1, v4
	v_cmp_le_u32_e32 vcc_lo, s40, v0
	s_delay_alu instid0(VALU_DEP_2) | instskip(SKIP_2) | instid1(VALU_DEP_2)
	v_cndmask_b32_e32 v0, v4, v8, vcc_lo
	v_mul_lo_u32 v4, v7, s19
	s_and_not1_b32 vcc_lo, exec_lo, s12
	v_xor_b32_e32 v0, v0, v5
	s_delay_alu instid0(VALU_DEP_1) | instskip(SKIP_2) | instid1(VALU_DEP_2)
	v_sub_nc_u32_e32 v11, v0, v5
	v_mul_lo_u32 v0, v6, s34
	v_mul_lo_u32 v5, v12, s18
	v_sub_nc_u32_e32 v8, v2, v0
	s_delay_alu instid0(VALU_DEP_4) | instskip(NEXT) | instid1(VALU_DEP_3)
	v_mul_lo_u32 v13, v11, s17
	v_dual_sub_nc_u32 v9, v6, v4 :: v_dual_sub_nc_u32 v10, v7, v5
	s_delay_alu instid0(VALU_DEP_2)
	v_sub_nc_u32_e32 v12, v12, v13
	s_cbranch_vccnz .LBB11_14
; %bb.4:                                ;   in Loop: Header=BB11_3 Depth=1
	s_delay_alu instid0(VALU_DEP_1) | instskip(NEXT) | instid1(VALU_DEP_3)
	v_sub_nc_u32_e32 v0, 0, v12
	v_mul_lo_u32 v7, v9, s5
	v_mul_lo_u32 v15, v8, s6
	;; [unrolled: 1-line block ×3, first 2 shown]
	s_mov_b32 s77, 0
	v_max_i32_e32 v0, v12, v0
	s_delay_alu instid0(VALU_DEP_1) | instskip(SKIP_3) | instid1(VALU_DEP_2)
	v_mul_u64_e32 v[4:5], s[64:65], v[0:1]
	v_subrev_nc_u32_e32 v14, s8, v7
	v_subrev_nc_u32_e32 v15, s9, v15
	s_wait_kmcnt 0x0
	v_mul_lo_u32 v18, s27, v14
	s_delay_alu instid0(VALU_DEP_2) | instskip(NEXT) | instid1(VALU_DEP_2)
	v_mul_lo_u32 v22, s70, v15
	v_dual_ashrrev_i32 v21, 31, v20 :: v_dual_ashrrev_i32 v19, 31, v18
	s_delay_alu instid0(VALU_DEP_2) | instskip(SKIP_1) | instid1(VALU_DEP_1)
	v_ashrrev_i32_e32 v23, 31, v22
	v_mul_lo_u32 v4, v5, s73
	v_dual_sub_nc_u32 v0, v0, v4 :: v_dual_add_nc_u32 v4, 1, v5
	s_delay_alu instid0(VALU_DEP_1) | instskip(NEXT) | instid1(VALU_DEP_2)
	v_cmp_le_u32_e32 vcc_lo, s73, v0
	v_cndmask_b32_e32 v4, v5, v4, vcc_lo
	v_subrev_nc_u32_e32 v6, s73, v0
	s_delay_alu instid0(VALU_DEP_1) | instskip(NEXT) | instid1(VALU_DEP_1)
	v_dual_cndmask_b32 v0, v0, v6 :: v_dual_ashrrev_i32 v5, 31, v12
	v_dual_add_nc_u32 v6, 1, v4 :: v_dual_bitop2_b32 v5, s76, v5 bitop3:0x14
	s_delay_alu instid0(VALU_DEP_2) | instskip(NEXT) | instid1(VALU_DEP_2)
	v_cmp_le_u32_e32 vcc_lo, s73, v0
	v_cndmask_b32_e32 v0, v4, v6, vcc_lo
	v_mul_lo_u32 v6, v10, s4
	v_mul_lo_u32 v4, s24, v11
	s_delay_alu instid0(VALU_DEP_2) | instskip(NEXT) | instid1(VALU_DEP_1)
	v_subrev_nc_u32_e32 v13, s7, v6
	v_mul_lo_u32 v16, s26, v13
	s_delay_alu instid0(VALU_DEP_1) | instskip(NEXT) | instid1(VALU_DEP_1)
	v_dual_ashrrev_i32 v17, 31, v16 :: v_dual_bitop2_b32 v0, v0, v5 bitop3:0x14
	v_dual_sub_nc_u32 v0, v0, v5 :: v_dual_ashrrev_i32 v5, 31, v4
	s_delay_alu instid0(VALU_DEP_1) | instskip(NEXT) | instid1(VALU_DEP_2)
	v_mul_lo_u32 v6, s25, v0
	v_lshl_add_u64 v[4:5], v[4:5], 1, s[50:51]
	s_delay_alu instid0(VALU_DEP_2) | instskip(NEXT) | instid1(VALU_DEP_1)
	v_dual_mov_b32 v0, 0 :: v_dual_ashrrev_i32 v7, 31, v6
	v_lshl_add_u64 v[4:5], v[6:7], 1, v[4:5]
	s_delay_alu instid0(VALU_DEP_1) | instskip(NEXT) | instid1(VALU_DEP_1)
	v_lshl_add_u64 v[4:5], v[16:17], 1, v[4:5]
	v_lshl_add_u64 v[6:7], v[18:19], 1, v[4:5]
	;; [unrolled: 1-line block ×3, first 2 shown]
	s_delay_alu instid0(VALU_DEP_2)
	v_lshl_add_u64 v[6:7], v[22:23], 1, v[6:7]
	s_branch .LBB11_6
.LBB11_5:                               ;   in Loop: Header=BB11_6 Depth=2
	s_delay_alu instid0(VALU_DEP_1) | instskip(SKIP_1) | instid1(SALU_CYCLE_1)
	v_lshl_add_u64 v[6:7], s[48:49], 1, v[6:7]
	s_add_co_i32 s77, s77, 1
	s_cmp_eq_u32 s77, s20
	s_cbranch_scc1 .LBB11_15
.LBB11_6:                               ;   Parent Loop BB11_3 Depth=1
                                        ; =>  This Loop Header: Depth=2
                                        ;       Child Loop BB11_9 Depth 3
                                        ;         Child Loop BB11_12 Depth 4
	s_and_not1_b32 vcc_lo, exec_lo, s16
	s_cbranch_vccnz .LBB11_5
; %bb.7:                                ;   in Loop: Header=BB11_6 Depth=2
	v_mad_u32 v16, s77, s10, v13
	s_mov_b32 s78, 0
	s_delay_alu instid0(VALU_DEP_1)
	v_cmp_lt_i32_e64 s0, -1, v16
	v_cmp_gt_i32_e64 s1, s13, v16
	s_branch .LBB11_9
.LBB11_8:                               ;   in Loop: Header=BB11_9 Depth=3
	s_delay_alu instid0(VALU_DEP_2) | instskip(SKIP_1) | instid1(SALU_CYCLE_1)
	v_lshl_add_u64 v[6:7], s[46:47], 1, v[6:7]
	s_add_co_i32 s78, s78, 1
	s_cmp_eq_u32 s78, s21
	s_cbranch_scc1 .LBB11_5
.LBB11_9:                               ;   Parent Loop BB11_3 Depth=1
                                        ;     Parent Loop BB11_6 Depth=2
                                        ; =>    This Loop Header: Depth=3
                                        ;         Child Loop BB11_12 Depth 4
	s_and_not1_b32 vcc_lo, exec_lo, s33
	s_cbranch_vccnz .LBB11_8
; %bb.10:                               ;   in Loop: Header=BB11_9 Depth=3
	v_mad_u32 v17, s78, s11, v14
	v_mov_b32_e32 v16, v15
	s_mov_b32 s80, s22
	s_delay_alu instid0(VALU_DEP_2)
	v_cmp_lt_i32_e64 s2, -1, v17
	v_cmp_gt_i32_e32 vcc_lo, s14, v17
	s_and_b32 s79, s0, s2
	s_branch .LBB11_12
.LBB11_11:                              ;   in Loop: Header=BB11_12 Depth=4
	s_wait_xcnt 0x0
	s_or_b32 exec_lo, exec_lo, s2
	v_add_nc_u64_e32 v[4:5], 2, v[4:5]
	v_add_nc_u64_e32 v[6:7], s[66:67], v[6:7]
	v_add_nc_u32_e32 v16, s42, v16
	s_add_co_i32 s80, s80, -1
	s_delay_alu instid0(SALU_CYCLE_1)
	s_cmp_eq_u32 s80, 0
	s_cbranch_scc1 .LBB11_8
.LBB11_12:                              ;   Parent Loop BB11_3 Depth=1
                                        ;     Parent Loop BB11_6 Depth=2
                                        ;       Parent Loop BB11_9 Depth=3
                                        ; =>      This Inner Loop Header: Depth=4
	s_delay_alu instid0(VALU_DEP_1) | instskip(SKIP_3) | instid1(SALU_CYCLE_1)
	v_cmp_lt_i32_e64 s2, -1, v16
	s_and_b32 s81, s79, s2
	v_cmp_gt_i32_e64 s2, s15, v16
	s_and_b32 s81, s81, s1
	s_and_b32 s81, s81, vcc_lo
	s_delay_alu instid0(SALU_CYCLE_1) | instskip(NEXT) | instid1(SALU_CYCLE_1)
	s_and_b32 s81, s81, s2
	s_and_saveexec_b32 s2, s81
	s_cbranch_execz .LBB11_11
; %bb.13:                               ;   in Loop: Header=BB11_12 Depth=4
	global_load_u16 v17, v[4:5], off
	global_load_u16 v18, v[6:7], off
	s_wait_loadcnt 0x0
	v_fma_mix_f32_bf16 v0, v18, v17, v0 op_sel_hi:[1,1,0]
	s_branch .LBB11_11
.LBB11_14:                              ;   in Loop: Header=BB11_3 Depth=1
	v_mov_b32_e32 v0, 0
.LBB11_15:                              ;   in Loop: Header=BB11_3 Depth=1
	s_and_b32 vcc_lo, exec_lo, s41
	s_cbranch_vccz .LBB11_2
; %bb.16:                               ;   in Loop: Header=BB11_3 Depth=1
	global_load_u16 v4, v12, s[44:45] scale_offset
	s_wait_loadcnt 0x0
	v_lshlrev_b32_e32 v4, 16, v4
	s_delay_alu instid0(VALU_DEP_1)
	v_add_f32_e32 v0, v0, v4
	s_branch .LBB11_2
.LBB11_17:
	s_endpgm
	.section	.rodata,"a",@progbits
	.p2align	6, 0x0
	.amdhsa_kernel _ZN2at6native12_GLOBAL__N_128conv_depthwise3d_cuda_kernelIN3c108BFloat16EfLin1ELin1ELin1ELin1ELin1ELin1EEEvN5torch10headeronly6detail27GenericPackedTensorAccessorINS7_14TensorAccessorINS3_8ArrayRefIlEEKT_Lm4ENS6_16DefaultPtrTraitsEiEENS_6detail16IndexBoundsCheckILm5EiEESD_Lm5ESE_iEENS8_INS9_ISB_SC_Lm4ESE_iEESI_SC_Lm5ESE_iEESJ_PSD_iiiiiiiii
		.amdhsa_group_segment_fixed_size 0
		.amdhsa_private_segment_fixed_size 0
		.amdhsa_kernarg_size 448
		.amdhsa_user_sgpr_count 2
		.amdhsa_user_sgpr_dispatch_ptr 0
		.amdhsa_user_sgpr_queue_ptr 0
		.amdhsa_user_sgpr_kernarg_segment_ptr 1
		.amdhsa_user_sgpr_dispatch_id 0
		.amdhsa_user_sgpr_kernarg_preload_length 0
		.amdhsa_user_sgpr_kernarg_preload_offset 0
		.amdhsa_user_sgpr_private_segment_size 0
		.amdhsa_wavefront_size32 1
		.amdhsa_uses_dynamic_stack 0
		.amdhsa_enable_private_segment 0
		.amdhsa_system_sgpr_workgroup_id_x 1
		.amdhsa_system_sgpr_workgroup_id_y 0
		.amdhsa_system_sgpr_workgroup_id_z 0
		.amdhsa_system_sgpr_workgroup_info 0
		.amdhsa_system_vgpr_workitem_id 0
		.amdhsa_next_free_vgpr 24
		.amdhsa_next_free_sgpr 82
		.amdhsa_named_barrier_count 0
		.amdhsa_reserve_vcc 1
		.amdhsa_float_round_mode_32 0
		.amdhsa_float_round_mode_16_64 0
		.amdhsa_float_denorm_mode_32 3
		.amdhsa_float_denorm_mode_16_64 3
		.amdhsa_fp16_overflow 0
		.amdhsa_memory_ordered 1
		.amdhsa_forward_progress 1
		.amdhsa_inst_pref_size 17
		.amdhsa_round_robin_scheduling 0
		.amdhsa_exception_fp_ieee_invalid_op 0
		.amdhsa_exception_fp_denorm_src 0
		.amdhsa_exception_fp_ieee_div_zero 0
		.amdhsa_exception_fp_ieee_overflow 0
		.amdhsa_exception_fp_ieee_underflow 0
		.amdhsa_exception_fp_ieee_inexact 0
		.amdhsa_exception_int_div_zero 0
	.end_amdhsa_kernel
	.section	.text._ZN2at6native12_GLOBAL__N_128conv_depthwise3d_cuda_kernelIN3c108BFloat16EfLin1ELin1ELin1ELin1ELin1ELin1EEEvN5torch10headeronly6detail27GenericPackedTensorAccessorINS7_14TensorAccessorINS3_8ArrayRefIlEEKT_Lm4ENS6_16DefaultPtrTraitsEiEENS_6detail16IndexBoundsCheckILm5EiEESD_Lm5ESE_iEENS8_INS9_ISB_SC_Lm4ESE_iEESI_SC_Lm5ESE_iEESJ_PSD_iiiiiiiii,"axG",@progbits,_ZN2at6native12_GLOBAL__N_128conv_depthwise3d_cuda_kernelIN3c108BFloat16EfLin1ELin1ELin1ELin1ELin1ELin1EEEvN5torch10headeronly6detail27GenericPackedTensorAccessorINS7_14TensorAccessorINS3_8ArrayRefIlEEKT_Lm4ENS6_16DefaultPtrTraitsEiEENS_6detail16IndexBoundsCheckILm5EiEESD_Lm5ESE_iEENS8_INS9_ISB_SC_Lm4ESE_iEESI_SC_Lm5ESE_iEESJ_PSD_iiiiiiiii,comdat
.Lfunc_end11:
	.size	_ZN2at6native12_GLOBAL__N_128conv_depthwise3d_cuda_kernelIN3c108BFloat16EfLin1ELin1ELin1ELin1ELin1ELin1EEEvN5torch10headeronly6detail27GenericPackedTensorAccessorINS7_14TensorAccessorINS3_8ArrayRefIlEEKT_Lm4ENS6_16DefaultPtrTraitsEiEENS_6detail16IndexBoundsCheckILm5EiEESD_Lm5ESE_iEENS8_INS9_ISB_SC_Lm4ESE_iEESI_SC_Lm5ESE_iEESJ_PSD_iiiiiiiii, .Lfunc_end11-_ZN2at6native12_GLOBAL__N_128conv_depthwise3d_cuda_kernelIN3c108BFloat16EfLin1ELin1ELin1ELin1ELin1ELin1EEEvN5torch10headeronly6detail27GenericPackedTensorAccessorINS7_14TensorAccessorINS3_8ArrayRefIlEEKT_Lm4ENS6_16DefaultPtrTraitsEiEENS_6detail16IndexBoundsCheckILm5EiEESD_Lm5ESE_iEENS8_INS9_ISB_SC_Lm4ESE_iEESI_SC_Lm5ESE_iEESJ_PSD_iiiiiiiii
                                        ; -- End function
	.set _ZN2at6native12_GLOBAL__N_128conv_depthwise3d_cuda_kernelIN3c108BFloat16EfLin1ELin1ELin1ELin1ELin1ELin1EEEvN5torch10headeronly6detail27GenericPackedTensorAccessorINS7_14TensorAccessorINS3_8ArrayRefIlEEKT_Lm4ENS6_16DefaultPtrTraitsEiEENS_6detail16IndexBoundsCheckILm5EiEESD_Lm5ESE_iEENS8_INS9_ISB_SC_Lm4ESE_iEESI_SC_Lm5ESE_iEESJ_PSD_iiiiiiiii.num_vgpr, 24
	.set _ZN2at6native12_GLOBAL__N_128conv_depthwise3d_cuda_kernelIN3c108BFloat16EfLin1ELin1ELin1ELin1ELin1ELin1EEEvN5torch10headeronly6detail27GenericPackedTensorAccessorINS7_14TensorAccessorINS3_8ArrayRefIlEEKT_Lm4ENS6_16DefaultPtrTraitsEiEENS_6detail16IndexBoundsCheckILm5EiEESD_Lm5ESE_iEENS8_INS9_ISB_SC_Lm4ESE_iEESI_SC_Lm5ESE_iEESJ_PSD_iiiiiiiii.num_agpr, 0
	.set _ZN2at6native12_GLOBAL__N_128conv_depthwise3d_cuda_kernelIN3c108BFloat16EfLin1ELin1ELin1ELin1ELin1ELin1EEEvN5torch10headeronly6detail27GenericPackedTensorAccessorINS7_14TensorAccessorINS3_8ArrayRefIlEEKT_Lm4ENS6_16DefaultPtrTraitsEiEENS_6detail16IndexBoundsCheckILm5EiEESD_Lm5ESE_iEENS8_INS9_ISB_SC_Lm4ESE_iEESI_SC_Lm5ESE_iEESJ_PSD_iiiiiiiii.numbered_sgpr, 82
	.set _ZN2at6native12_GLOBAL__N_128conv_depthwise3d_cuda_kernelIN3c108BFloat16EfLin1ELin1ELin1ELin1ELin1ELin1EEEvN5torch10headeronly6detail27GenericPackedTensorAccessorINS7_14TensorAccessorINS3_8ArrayRefIlEEKT_Lm4ENS6_16DefaultPtrTraitsEiEENS_6detail16IndexBoundsCheckILm5EiEESD_Lm5ESE_iEENS8_INS9_ISB_SC_Lm4ESE_iEESI_SC_Lm5ESE_iEESJ_PSD_iiiiiiiii.num_named_barrier, 0
	.set _ZN2at6native12_GLOBAL__N_128conv_depthwise3d_cuda_kernelIN3c108BFloat16EfLin1ELin1ELin1ELin1ELin1ELin1EEEvN5torch10headeronly6detail27GenericPackedTensorAccessorINS7_14TensorAccessorINS3_8ArrayRefIlEEKT_Lm4ENS6_16DefaultPtrTraitsEiEENS_6detail16IndexBoundsCheckILm5EiEESD_Lm5ESE_iEENS8_INS9_ISB_SC_Lm4ESE_iEESI_SC_Lm5ESE_iEESJ_PSD_iiiiiiiii.private_seg_size, 0
	.set _ZN2at6native12_GLOBAL__N_128conv_depthwise3d_cuda_kernelIN3c108BFloat16EfLin1ELin1ELin1ELin1ELin1ELin1EEEvN5torch10headeronly6detail27GenericPackedTensorAccessorINS7_14TensorAccessorINS3_8ArrayRefIlEEKT_Lm4ENS6_16DefaultPtrTraitsEiEENS_6detail16IndexBoundsCheckILm5EiEESD_Lm5ESE_iEENS8_INS9_ISB_SC_Lm4ESE_iEESI_SC_Lm5ESE_iEESJ_PSD_iiiiiiiii.uses_vcc, 1
	.set _ZN2at6native12_GLOBAL__N_128conv_depthwise3d_cuda_kernelIN3c108BFloat16EfLin1ELin1ELin1ELin1ELin1ELin1EEEvN5torch10headeronly6detail27GenericPackedTensorAccessorINS7_14TensorAccessorINS3_8ArrayRefIlEEKT_Lm4ENS6_16DefaultPtrTraitsEiEENS_6detail16IndexBoundsCheckILm5EiEESD_Lm5ESE_iEENS8_INS9_ISB_SC_Lm4ESE_iEESI_SC_Lm5ESE_iEESJ_PSD_iiiiiiiii.uses_flat_scratch, 0
	.set _ZN2at6native12_GLOBAL__N_128conv_depthwise3d_cuda_kernelIN3c108BFloat16EfLin1ELin1ELin1ELin1ELin1ELin1EEEvN5torch10headeronly6detail27GenericPackedTensorAccessorINS7_14TensorAccessorINS3_8ArrayRefIlEEKT_Lm4ENS6_16DefaultPtrTraitsEiEENS_6detail16IndexBoundsCheckILm5EiEESD_Lm5ESE_iEENS8_INS9_ISB_SC_Lm4ESE_iEESI_SC_Lm5ESE_iEESJ_PSD_iiiiiiiii.has_dyn_sized_stack, 0
	.set _ZN2at6native12_GLOBAL__N_128conv_depthwise3d_cuda_kernelIN3c108BFloat16EfLin1ELin1ELin1ELin1ELin1ELin1EEEvN5torch10headeronly6detail27GenericPackedTensorAccessorINS7_14TensorAccessorINS3_8ArrayRefIlEEKT_Lm4ENS6_16DefaultPtrTraitsEiEENS_6detail16IndexBoundsCheckILm5EiEESD_Lm5ESE_iEENS8_INS9_ISB_SC_Lm4ESE_iEESI_SC_Lm5ESE_iEESJ_PSD_iiiiiiiii.has_recursion, 0
	.set _ZN2at6native12_GLOBAL__N_128conv_depthwise3d_cuda_kernelIN3c108BFloat16EfLin1ELin1ELin1ELin1ELin1ELin1EEEvN5torch10headeronly6detail27GenericPackedTensorAccessorINS7_14TensorAccessorINS3_8ArrayRefIlEEKT_Lm4ENS6_16DefaultPtrTraitsEiEENS_6detail16IndexBoundsCheckILm5EiEESD_Lm5ESE_iEENS8_INS9_ISB_SC_Lm4ESE_iEESI_SC_Lm5ESE_iEESJ_PSD_iiiiiiiii.has_indirect_call, 0
	.section	.AMDGPU.csdata,"",@progbits
; Kernel info:
; codeLenInByte = 2064
; TotalNumSgprs: 84
; NumVgprs: 24
; ScratchSize: 0
; MemoryBound: 0
; FloatMode: 240
; IeeeMode: 1
; LDSByteSize: 0 bytes/workgroup (compile time only)
; SGPRBlocks: 0
; VGPRBlocks: 1
; NumSGPRsForWavesPerEU: 84
; NumVGPRsForWavesPerEU: 24
; NamedBarCnt: 0
; Occupancy: 16
; WaveLimiterHint : 0
; COMPUTE_PGM_RSRC2:SCRATCH_EN: 0
; COMPUTE_PGM_RSRC2:USER_SGPR: 2
; COMPUTE_PGM_RSRC2:TRAP_HANDLER: 0
; COMPUTE_PGM_RSRC2:TGID_X_EN: 1
; COMPUTE_PGM_RSRC2:TGID_Y_EN: 0
; COMPUTE_PGM_RSRC2:TGID_Z_EN: 0
; COMPUTE_PGM_RSRC2:TIDIG_COMP_CNT: 0
	.section	.text._ZN2at6native12_GLOBAL__N_143conv_depthwise3d_cuda_backward_input_kernelIddLi3ELi3ELi3ELi1ELi1ELi1ELi1ELi1ELi1EEEvN5torch10headeronly6detail27GenericPackedTensorAccessorINS5_14TensorAccessorIN3c108ArrayRefIlEEKT_Lm4ENS4_16DefaultPtrTraitsEiEENS_6detail16IndexBoundsCheckILm5EiEESC_Lm5ESD_iEENS6_INS7_ISA_SB_Lm4ESD_iEESH_SB_Lm5ESD_iEESI_iiiiiiiii,"axG",@progbits,_ZN2at6native12_GLOBAL__N_143conv_depthwise3d_cuda_backward_input_kernelIddLi3ELi3ELi3ELi1ELi1ELi1ELi1ELi1ELi1EEEvN5torch10headeronly6detail27GenericPackedTensorAccessorINS5_14TensorAccessorIN3c108ArrayRefIlEEKT_Lm4ENS4_16DefaultPtrTraitsEiEENS_6detail16IndexBoundsCheckILm5EiEESC_Lm5ESD_iEENS6_INS7_ISA_SB_Lm4ESD_iEESH_SB_Lm5ESD_iEESI_iiiiiiiii,comdat
	.globl	_ZN2at6native12_GLOBAL__N_143conv_depthwise3d_cuda_backward_input_kernelIddLi3ELi3ELi3ELi1ELi1ELi1ELi1ELi1ELi1EEEvN5torch10headeronly6detail27GenericPackedTensorAccessorINS5_14TensorAccessorIN3c108ArrayRefIlEEKT_Lm4ENS4_16DefaultPtrTraitsEiEENS_6detail16IndexBoundsCheckILm5EiEESC_Lm5ESD_iEENS6_INS7_ISA_SB_Lm4ESD_iEESH_SB_Lm5ESD_iEESI_iiiiiiiii ; -- Begin function _ZN2at6native12_GLOBAL__N_143conv_depthwise3d_cuda_backward_input_kernelIddLi3ELi3ELi3ELi1ELi1ELi1ELi1ELi1ELi1EEEvN5torch10headeronly6detail27GenericPackedTensorAccessorINS5_14TensorAccessorIN3c108ArrayRefIlEEKT_Lm4ENS4_16DefaultPtrTraitsEiEENS_6detail16IndexBoundsCheckILm5EiEESC_Lm5ESD_iEENS6_INS7_ISA_SB_Lm4ESD_iEESH_SB_Lm5ESD_iEESI_iiiiiiiii
	.p2align	8
	.type	_ZN2at6native12_GLOBAL__N_143conv_depthwise3d_cuda_backward_input_kernelIddLi3ELi3ELi3ELi1ELi1ELi1ELi1ELi1ELi1EEEvN5torch10headeronly6detail27GenericPackedTensorAccessorINS5_14TensorAccessorIN3c108ArrayRefIlEEKT_Lm4ENS4_16DefaultPtrTraitsEiEENS_6detail16IndexBoundsCheckILm5EiEESC_Lm5ESD_iEENS6_INS7_ISA_SB_Lm4ESD_iEESH_SB_Lm5ESD_iEESI_iiiiiiiii,@function
_ZN2at6native12_GLOBAL__N_143conv_depthwise3d_cuda_backward_input_kernelIddLi3ELi3ELi3ELi1ELi1ELi1ELi1ELi1ELi1EEEvN5torch10headeronly6detail27GenericPackedTensorAccessorINS5_14TensorAccessorIN3c108ArrayRefIlEEKT_Lm4ENS4_16DefaultPtrTraitsEiEENS_6detail16IndexBoundsCheckILm5EiEESC_Lm5ESD_iEENS6_INS7_ISA_SB_Lm4ESD_iEESH_SB_Lm5ESD_iEESI_iiiiiiiii: ; @_ZN2at6native12_GLOBAL__N_143conv_depthwise3d_cuda_backward_input_kernelIddLi3ELi3ELi3ELi1ELi1ELi1ELi1ELi1ELi1EEEvN5torch10headeronly6detail27GenericPackedTensorAccessorINS5_14TensorAccessorIN3c108ArrayRefIlEEKT_Lm4ENS4_16DefaultPtrTraitsEiEENS_6detail16IndexBoundsCheckILm5EiEESC_Lm5ESD_iEENS6_INS7_ISA_SB_Lm4ESD_iEESH_SB_Lm5ESD_iEESI_iiiiiiiii
; %bb.0:
	s_clause 0x1
	s_load_b128 s[4:7], s[0:1], 0x38
	s_load_b32 s2, s[0:1], 0xc4
	s_bfe_u32 s3, ttmp6, 0x4000c
	s_load_b64 s[20:21], s[0:1], 0x48
	s_add_co_i32 s3, s3, 1
	s_and_b32 s8, ttmp6, 15
	s_mul_i32 s3, ttmp9, s3
	s_getreg_b32 s9, hwreg(HW_REG_IB_STS2, 6, 4)
	v_dual_mov_b32 v10, v0 :: v_dual_mov_b32 v11, 0
	s_add_co_i32 s8, s8, s3
	s_mov_b32 s25, 0
	s_wait_kmcnt 0x0
	s_abs_i32 s19, s5
	s_and_b32 s2, s2, 0xffff
	s_cmp_eq_u32 s9, 0
	s_mul_i32 s22, s21, s4
	s_cselect_b32 s3, ttmp9, s8
	s_ashr_i32 s23, s22, 31
	v_mad_nc_u64_u32 v[12:13], s2, s3, v[10:11]
	s_cvt_f32_u32 s3, s19
	s_mov_b32 s4, exec_lo
	s_delay_alu instid0(SALU_CYCLE_2) | instskip(SKIP_1) | instid1(TRANS32_DEP_1)
	v_rcp_iflag_f32_e32 v0, s3
	v_nop
	v_readfirstlane_b32 s3, v0
	s_delay_alu instid0(VALU_DEP_3)
	v_cmpx_gt_i64_e64 s[22:23], v[12:13]
	s_cbranch_execz .LBB12_62
; %bb.1:
	s_clause 0x1
	s_load_b128 s[8:11], s[0:1], 0xc
	s_load_b64 s[26:27], s[0:1], 0x0
	s_mul_f32 s3, s3, 0x4f7ffffe
	s_sub_co_i32 s4, 0, s19
	s_mov_b32 s13, s25
	s_ashr_i32 s33, s5, 31
	s_cvt_u32_f32 s3, s3
	s_add_nc_u64 s[36:37], s[0:1], 0xb8
	s_clause 0x3
	s_load_b96 s[16:18], s[0:1], 0x9c
	s_load_b32 s44, s[0:1], 0x7c
	s_load_b64 s[28:29], s[0:1], 0x1c
	s_load_b64 s[30:31], s[0:1], 0x30
	s_mul_i32 s12, s4, s3
	s_mov_b32 s41, s25
	s_mul_hi_u32 s12, s3, s12
	s_mov_b32 s43, s25
	s_add_co_i32 s12, s3, s12
	s_mov_b32 s53, s25
	s_wait_kmcnt 0x0
	s_abs_i32 s24, s8
	s_ashr_i32 s3, s8, 31
	s_mul_u64 s[38:39], s[24:25], s[12:13]
	s_xor_b32 s3, s3, s33
	s_mul_i32 s8, s39, s19
	s_clause 0x1
	s_load_b64 s[34:35], s[0:1], 0x60
	s_load_b128 s[12:15], s[0:1], 0x50
	s_sub_co_i32 s8, s24, s8
	s_add_co_i32 s24, s39, 1
	s_sub_co_i32 s38, s8, s19
	s_cmp_ge_u32 s8, s19
	s_wait_xcnt 0x0
	s_cselect_b32 s0, s24, s39
	s_cselect_b32 s1, s38, s8
	s_add_co_i32 s8, s0, 1
	s_cmp_ge_u32 s1, s19
	s_load_b32 s1, s[36:37], 0x0
	s_cselect_b32 s0, s8, s0
	v_readfirstlane_b32 s24, v0
	s_xor_b32 s0, s0, s3
	s_wait_xcnt 0x0
	s_mov_b32 s37, s25
	s_sub_co_i32 s8, s0, s3
	s_mov_b32 s39, s25
	s_cmp_gt_i32 s8, 0
	s_mul_f32 s0, s24, 0x4f7ffffe
	s_cselect_b32 s45, -1, 0
	s_abs_i32 s46, s20
	s_abs_i32 s47, s7
	;; [unrolled: 1-line block ×3, first 2 shown]
	s_cvt_f32_u32 s3, s46
	s_cvt_f32_u32 s24, s47
	;; [unrolled: 1-line block ×3, first 2 shown]
	s_cvt_u32_f32 s0, s0
	v_rcp_iflag_f32_e32 v0, s3
	v_rcp_iflag_f32_e32 v1, s24
	;; [unrolled: 1-line block ×3, first 2 shown]
	s_wait_kmcnt 0x0
	s_mul_i32 s24, s1, s2
	s_sub_co_i32 s36, 0, s46
	s_sub_co_i32 s38, 0, s47
	;; [unrolled: 1-line block ×3, first 2 shown]
	v_readfirstlane_b32 s1, v0
	v_readfirstlane_b32 s2, v1
	;; [unrolled: 1-line block ×3, first 2 shown]
	s_mul_i32 s4, s4, s0
	s_ashr_i32 s49, s20, 31
	s_mul_f32 s1, s1, 0x4f7ffffe
	s_mul_f32 s2, s2, 0x4f7ffffe
	;; [unrolled: 1-line block ×3, first 2 shown]
	s_ashr_i32 s50, s7, 31
	s_cvt_u32_f32 s1, s1
	s_cvt_u32_f32 s2, s2
	;; [unrolled: 1-line block ×3, first 2 shown]
	s_ashr_i32 s51, s6, 31
	s_mul_i32 s36, s36, s1
	s_mul_i32 s38, s38, s2
	;; [unrolled: 1-line block ×3, first 2 shown]
	s_mul_hi_u32 s36, s1, s36
	s_mul_hi_u32 s38, s2, s38
	;; [unrolled: 1-line block ×3, first 2 shown]
	s_add_co_i32 s36, s1, s36
	s_mul_hi_u32 s1, s0, s4
	s_add_co_i32 s38, s2, s38
	s_add_co_i32 s40, s3, s40
	;; [unrolled: 1-line block ×3, first 2 shown]
	s_mul_i32 s52, s29, s8
	s_branch .LBB12_4
.LBB12_2:                               ;   in Loop: Header=BB12_4 Depth=1
	s_or_b32 exec_lo, exec_lo, s0
	s_clause 0x6
	scratch_load_b64 v[10:11], off, off offset:184
	scratch_load_b64 v[12:13], off, off offset:192
	scratch_load_b32 v7, off, off offset:200
	scratch_load_b32 v8, off, off offset:204
	;; [unrolled: 1-line block ×5, first 2 shown]
.LBB12_3:                               ;   in Loop: Header=BB12_4 Depth=1
	s_wait_loadcnt 0x1
	v_mul_lo_u32 v0, v9, s21
	s_wait_loadcnt 0x0
	v_mul_lo_u32 v2, s12, v33
	v_mul_lo_u32 v4, s13, v1
	;; [unrolled: 1-line block ×4, first 2 shown]
	v_add_nc_u64_e32 v[12:13], s[24:25], v[12:13]
	v_dual_ashrrev_i32 v1, 31, v0 :: v_dual_ashrrev_i32 v3, 31, v2
	s_delay_alu instid0(VALU_DEP_4) | instskip(NEXT) | instid1(VALU_DEP_4)
	v_dual_ashrrev_i32 v5, 31, v4 :: v_dual_ashrrev_i32 v7, 31, v6
	v_ashrrev_i32_e32 v9, 31, v8
	s_delay_alu instid0(VALU_DEP_3) | instskip(SKIP_1) | instid1(VALU_DEP_2)
	v_lshl_add_u64 v[0:1], v[0:1], 3, s[30:31]
	v_cmp_le_i64_e32 vcc_lo, s[22:23], v[12:13]
	v_lshl_add_u64 v[0:1], v[2:3], 3, v[0:1]
	s_or_b32 s53, vcc_lo, s53
	s_delay_alu instid0(VALU_DEP_1) | instskip(NEXT) | instid1(VALU_DEP_1)
	v_lshl_add_u64 v[0:1], v[4:5], 3, v[0:1]
	v_lshl_add_u64 v[0:1], v[6:7], 3, v[0:1]
	s_delay_alu instid0(VALU_DEP_1)
	v_lshl_add_u64 v[0:1], v[8:9], 3, v[0:1]
	global_store_b64 v[0:1], v[52:53], off
	s_wait_xcnt 0x0
	s_and_not1_b32 exec_lo, exec_lo, s53
	s_cbranch_execz .LBB12_62
.LBB12_4:                               ; =>This Loop Header: Depth=1
                                        ;     Child Loop BB12_7 Depth 2
	v_sub_nc_u32_e32 v0, 0, v12
	s_delay_alu instid0(VALU_DEP_1) | instskip(NEXT) | instid1(VALU_DEP_1)
	v_max_i32_e32 v10, v12, v0
	v_mul_u64_e32 v[0:1], s[36:37], v[10:11]
	s_delay_alu instid0(VALU_DEP_1) | instskip(NEXT) | instid1(VALU_DEP_1)
	v_mul_lo_u32 v0, v1, s46
	v_dual_add_nc_u32 v2, 1, v1 :: v_dual_sub_nc_u32 v0, v10, v0
	s_delay_alu instid0(VALU_DEP_1) | instskip(SKIP_1) | instid1(VALU_DEP_3)
	v_subrev_nc_u32_e32 v3, s46, v0
	v_cmp_le_u32_e32 vcc_lo, s46, v0
	v_dual_cndmask_b32 v1, v1, v2 :: v_dual_ashrrev_i32 v2, 31, v12
	s_delay_alu instid0(VALU_DEP_1) | instskip(NEXT) | instid1(VALU_DEP_1)
	v_dual_cndmask_b32 v0, v0, v3 :: v_dual_add_nc_u32 v3, 1, v1
	v_cmp_le_u32_e32 vcc_lo, s46, v0
	s_delay_alu instid0(VALU_DEP_2) | instskip(NEXT) | instid1(VALU_DEP_1)
	v_dual_cndmask_b32 v0, v1, v3, vcc_lo :: v_dual_bitop2_b32 v2, s49, v2 bitop3:0x14
	v_xor_b32_e32 v0, v0, v2
	s_delay_alu instid0(VALU_DEP_1) | instskip(NEXT) | instid1(VALU_DEP_1)
	v_sub_nc_u32_e32 v2, v0, v2
	v_sub_nc_u32_e32 v0, 0, v2
	s_delay_alu instid0(VALU_DEP_1) | instskip(NEXT) | instid1(VALU_DEP_1)
	v_max_i32_e32 v10, v2, v0
	v_mul_u64_e32 v[0:1], s[38:39], v[10:11]
	s_delay_alu instid0(VALU_DEP_1) | instskip(NEXT) | instid1(VALU_DEP_1)
	v_mul_lo_u32 v0, v1, s47
	v_dual_add_nc_u32 v3, 1, v1 :: v_dual_sub_nc_u32 v0, v10, v0
	s_delay_alu instid0(VALU_DEP_1) | instskip(SKIP_1) | instid1(VALU_DEP_2)
	v_subrev_nc_u32_e32 v4, s47, v0
	v_cmp_le_u32_e32 vcc_lo, s47, v0
	v_dual_cndmask_b32 v1, v1, v3 :: v_dual_cndmask_b32 v0, v0, v4
	s_delay_alu instid0(VALU_DEP_1) | instskip(NEXT) | instid1(VALU_DEP_2)
	v_dual_ashrrev_i32 v3, 31, v2 :: v_dual_add_nc_u32 v4, 1, v1
	v_cmp_le_u32_e32 vcc_lo, s47, v0
	s_delay_alu instid0(VALU_DEP_2) | instskip(NEXT) | instid1(VALU_DEP_1)
	v_dual_cndmask_b32 v0, v1, v4, vcc_lo :: v_dual_bitop2_b32 v3, s50, v3 bitop3:0x14
	v_xor_b32_e32 v0, v0, v3
	s_delay_alu instid0(VALU_DEP_1) | instskip(NEXT) | instid1(VALU_DEP_1)
	v_sub_nc_u32_e32 v3, v0, v3
	v_sub_nc_u32_e32 v0, 0, v3
	s_delay_alu instid0(VALU_DEP_1) | instskip(NEXT) | instid1(VALU_DEP_1)
	v_max_i32_e32 v10, v3, v0
	v_mul_u64_e32 v[0:1], s[40:41], v[10:11]
	s_delay_alu instid0(VALU_DEP_1) | instskip(NEXT) | instid1(VALU_DEP_1)
	v_mul_lo_u32 v0, v1, s48
	v_dual_add_nc_u32 v4, 1, v1 :: v_dual_sub_nc_u32 v0, v10, v0
	s_delay_alu instid0(VALU_DEP_1) | instskip(SKIP_1) | instid1(VALU_DEP_3)
	v_subrev_nc_u32_e32 v5, s48, v0
	v_cmp_le_u32_e32 vcc_lo, s48, v0
	v_dual_cndmask_b32 v1, v1, v4 :: v_dual_ashrrev_i32 v4, 31, v3
	s_delay_alu instid0(VALU_DEP_1) | instskip(NEXT) | instid1(VALU_DEP_2)
	v_dual_cndmask_b32 v0, v0, v5, vcc_lo :: v_dual_bitop2_b32 v4, s51, v4 bitop3:0x14
	v_add_nc_u32_e32 v5, 1, v1
	s_delay_alu instid0(VALU_DEP_2) | instskip(NEXT) | instid1(VALU_DEP_2)
	v_cmp_le_u32_e32 vcc_lo, s48, v0
	v_cndmask_b32_e32 v0, v1, v5, vcc_lo
	s_delay_alu instid0(VALU_DEP_1) | instskip(NEXT) | instid1(VALU_DEP_1)
	v_xor_b32_e32 v0, v0, v4
	v_sub_nc_u32_e32 v4, v0, v4
	s_delay_alu instid0(VALU_DEP_1) | instskip(NEXT) | instid1(VALU_DEP_1)
	v_sub_nc_u32_e32 v0, 0, v4
	v_max_i32_e32 v10, v4, v0
	s_delay_alu instid0(VALU_DEP_1) | instskip(NEXT) | instid1(VALU_DEP_1)
	v_mul_u64_e32 v[0:1], s[42:43], v[10:11]
	v_mul_lo_u32 v0, v1, s19
	s_delay_alu instid0(VALU_DEP_1) | instskip(NEXT) | instid1(VALU_DEP_1)
	v_dual_add_nc_u32 v5, 1, v1 :: v_dual_sub_nc_u32 v0, v10, v0
	v_cmp_le_u32_e32 vcc_lo, s19, v0
	s_delay_alu instid0(VALU_DEP_2) | instskip(NEXT) | instid1(VALU_DEP_1)
	v_dual_cndmask_b32 v1, v1, v5, vcc_lo :: v_dual_ashrrev_i32 v5, 31, v4
	v_xor_b32_e32 v5, s33, v5
	v_subrev_nc_u32_e32 v6, s19, v0
	s_delay_alu instid0(VALU_DEP_1) | instskip(NEXT) | instid1(VALU_DEP_1)
	v_dual_cndmask_b32 v0, v0, v6, vcc_lo :: v_dual_add_nc_u32 v6, 1, v1
	v_cmp_le_u32_e32 vcc_lo, s19, v0
	s_delay_alu instid0(VALU_DEP_2) | instskip(SKIP_2) | instid1(VALU_DEP_2)
	v_cndmask_b32_e32 v0, v1, v6, vcc_lo
	v_mul_lo_u32 v1, v3, s7
	s_and_not1_b32 vcc_lo, exec_lo, s45
	v_xor_b32_e32 v0, v0, v5
	s_delay_alu instid0(VALU_DEP_1) | instskip(SKIP_3) | instid1(VALU_DEP_4)
	v_sub_nc_u32_e32 v9, v0, v5
	v_mul_lo_u32 v0, v2, s20
	v_mul_lo_u32 v5, v4, s6
	v_sub_nc_u32_e32 v8, v2, v1
	v_mul_lo_u32 v6, v9, s5
	s_delay_alu instid0(VALU_DEP_3) | instskip(NEXT) | instid1(VALU_DEP_2)
	v_dual_sub_nc_u32 v7, v12, v0 :: v_dual_sub_nc_u32 v1, v3, v5
	v_sub_nc_u32_e32 v33, v4, v6
	s_cbranch_vccnz .LBB12_61
; %bb.5:                                ;   in Loop: Header=BB12_4 Depth=1
	s_clause 0x2
	scratch_store_b64 off, v[12:13], off offset:192
	scratch_store_b64 off, v[10:11], off offset:184
	scratch_store_b32 off, v1, off offset:208
	s_wait_xcnt 0x2
	v_dual_add_nc_u32 v13, s16, v1 :: v_dual_add_nc_u32 v5, s17, v8
	v_add_nc_u32_e32 v0, s18, v7
	scratch_store_b32 off, v7, off offset:200 ; 4-byte Folded Spill
	v_mul_lo_u32 v6, s28, v9
	v_mul_lo_u32 v14, v13, s10
	v_dual_add_nc_u32 v2, -2, v5 :: v_dual_add_nc_u32 v4, -1, v5
	v_or_b32_e32 v3, v0, v5
	s_wait_xcnt 0x2
	v_dual_add_nc_u32 v10, -2, v13 :: v_dual_add_nc_u32 v15, -1, v13
	s_wait_xcnt 0x1
	v_dual_add_nc_u32 v1, -1, v0 :: v_dual_bitop2_b32 v16, v0, v2 bitop3:0x54
	v_cmp_gt_i32_e64 s0, s10, v5
	s_delay_alu instid0(VALU_DEP_3)
	v_or_b32_e32 v11, v3, v10
	s_wait_xcnt 0x0
	v_dual_add_nc_u32 v7, v5, v14 :: v_dual_bitop2_b32 v17, v0, v4 bitop3:0x54
	v_or_b32_e32 v18, v3, v15
	v_or_b32_e32 v21, v1, v5
	v_cmp_gt_i32_e64 s1, s11, v0
	v_cmp_gt_i32_e32 vcc_lo, s9, v13
	v_mul_lo_u32 v19, v7, s11
	v_or_b32_e32 v3, v3, v13
	v_cmp_gt_i32_e64 s2, s11, v1
	s_and_b32 s72, s1, s0
	v_dual_ashrrev_i32 v7, 31, v6 :: v_dual_bitop2_b32 v22, v1, v4 bitop3:0x54
	v_mul_lo_u32 v54, v33, s8
	s_and_b32 s73, s2, s0
	v_mul_lo_u32 v64, s52, v33
	v_mov_b64_e32 v[52:53], 0
	v_lshl_add_u64 v[6:7], v[6:7], 3, s[26:27]
	v_add_nc_u32_e32 v24, v0, v19
	v_cmp_lt_i32_e64 s3, -1, v3
	v_or_b32_e32 v3, v21, v13
	v_or_b32_e32 v20, v1, v2
	s_delay_alu instid0(VALU_DEP_4)
	v_dual_add_nc_u32 v27, v4, v14 :: v_dual_ashrrev_i32 v25, 31, v24
	s_and_b32 s3, s72, s3
	v_add_nc_u32_e32 v55, s8, v54
	s_and_b32 s54, s3, vcc_lo
	v_cmp_lt_i32_e64 s3, -1, v3
	v_dual_add_nc_u32 v3, -2, v0 :: v_dual_bitop2_b32 v12, v21, v10 bitop3:0x54
	v_or_b32_e32 v21, v21, v15
	scratch_store_b32 off, v33, off offset:216 ; 4-byte Folded Spill
	s_and_b32 s3, s73, s3
	v_dual_add_nc_u32 v30, v3, v19 :: v_dual_bitop2_b32 v23, v3, v5 bitop3:0x54
	s_and_b32 s55, s3, vcc_lo
	v_cmp_gt_i32_e64 s3, s11, v3
	s_delay_alu instid0(VALU_DEP_2)
	v_dual_ashrrev_i32 v31, 31, v30 :: v_dual_bitop2_b32 v26, v23, v13 bitop3:0x54
	scratch_store_b64 off, v[24:25], off    ; 8-byte Folded Spill
	s_wait_xcnt 0x0
	v_add_nc_u32_e32 v24, v1, v19
	s_and_b32 s74, s3, s0
	v_cmp_gt_i32_e64 s0, s10, v4
	v_cmp_lt_i32_e64 s4, -1, v26
	v_mul_lo_u32 v26, v27, s11
	v_dual_ashrrev_i32 v25, 31, v24 :: v_dual_bitop2_b32 v19, v17, v13 bitop3:0x54
	s_and_b32 s75, s1, s0
	s_and_b32 s4, s74, s4
	;; [unrolled: 1-line block ×3, first 2 shown]
	s_and_b32 s56, s4, vcc_lo
	s_and_b32 s78, s3, s0
	v_cmp_gt_i32_e64 s0, s10, v2
	s_delay_alu instid0(VALU_DEP_3) | instskip(SKIP_3) | instid1(VALU_DEP_1)
	v_add_nc_u32_e32 v34, v3, v26
	s_and_b32 s79, s1, s0
	s_and_b32 s77, s2, s0
	;; [unrolled: 1-line block ×3, first 2 shown]
	v_ashrrev_i32_e32 v35, 31, v34
	scratch_store_b64 off, v[30:31], off offset:16 ; 8-byte Folded Spill
	s_wait_xcnt 0x0
	v_add_nc_u32_e32 v30, v0, v26
	v_cmp_lt_i32_e64 s4, -1, v19
	v_cmp_lt_i32_e64 s0, -1, v18
	v_cmp_lt_i32_e64 s3, -1, v12
	s_delay_alu instid0(VALU_DEP_4)
	v_ashrrev_i32_e32 v31, 31, v30
	s_clause 0x1
	scratch_store_b64 off, v[24:25], off offset:8
	scratch_store_b32 off, v8, off offset:204
	s_wait_xcnt 0x1
	v_or_b32_e32 v25, v3, v4
	s_and_b32 s4, s75, s4
	scratch_store_b64 off, v[30:31], off offset:24 ; 8-byte Folded Spill
	s_wait_xcnt 0x0
	v_dual_add_nc_u32 v30, v1, v26 :: v_dual_bitop2_b32 v27, v22, v13 bitop3:0x54
	s_and_b32 s57, s4, vcc_lo
	v_or_b32_e32 v29, v25, v13
	s_delay_alu instid0(VALU_DEP_2) | instskip(NEXT) | instid1(VALU_DEP_3)
	v_dual_ashrrev_i32 v31, 31, v30 :: v_dual_bitop2_b32 v26, v16, v13 bitop3:0x54
	v_cmp_lt_i32_e64 s4, -1, v27
	scratch_store_b32 off, v9, off offset:212 ; 4-byte Folded Spill
	s_and_b32 s0, s72, s0
	v_mul_lo_u32 v8, s44, v54
	scratch_store_b64 off, v[30:31], off offset:32 ; 8-byte Folded Spill
	s_and_b32 s4, s76, s4
	s_wait_xcnt 0x0
	v_add_nc_u32_e32 v30, v2, v14
	s_and_b32 s58, s4, vcc_lo
	v_cmp_lt_i32_e64 s4, -1, v29
	v_subrev_nc_u32_e32 v14, s10, v14
	s_and_b32 s3, s73, s3
	v_mul_lo_u32 v29, v30, s11
	v_or_b32_e32 v30, v20, v13
	s_and_b32 s4, s78, s4
	v_or_b32_e32 v24, v3, v2
	s_and_b32 s59, s4, vcc_lo
	v_cmp_lt_i32_e64 s4, -1, v26
	v_add_nc_u32_e32 v32, v5, v14
	v_or_b32_e32 v28, v23, v10
	v_or_b32_e32 v13, v24, v13
	;; [unrolled: 1-line block ×3, first 2 shown]
	s_and_b32 s1, s79, s4
	v_ashrrev_i32_e32 v9, 31, v8
	s_and_b32 s60, s1, vcc_lo
	v_cmp_lt_i32_e64 s1, -1, v30
	s_delay_alu instid0(VALU_DEP_2) | instskip(SKIP_1) | instid1(SALU_CYCLE_1)
	v_lshl_add_u64 v[8:9], v[8:9], 3, s[34:35]
	s_and_b32 s1, s77, s1
	s_and_b32 s61, s1, vcc_lo
	v_cmp_lt_i32_e64 s1, -1, v13
	v_mul_lo_u32 v13, v32, s11
	v_or_b32_e32 v27, v22, v10
	v_or_b32_e32 v26, v16, v10
	;; [unrolled: 1-line block ×3, first 2 shown]
	s_and_b32 s1, s80, s1
	v_or_b32_e32 v22, v22, v15
	s_and_b32 s62, s1, vcc_lo
	v_cmp_gt_i32_e32 vcc_lo, s9, v15
	v_cmp_lt_i32_e64 s1, -1, v21
	v_dual_add_nc_u32 v36, v0, v13 :: v_dual_bitop2_b32 v31, v25, v10 bitop3:0x54
	v_or_b32_e32 v25, v25, v15
	s_and_b32 s63, s0, vcc_lo
	s_and_b32 s0, s73, s1
	s_delay_alu instid0(VALU_DEP_2)
	v_ashrrev_i32_e32 v37, 31, v36
	scratch_store_b64 off, v[34:35], off offset:40 ; 8-byte Folded Spill
	s_wait_xcnt 0x0
	v_dual_add_nc_u32 v34, v0, v29 :: v_dual_bitop2_b32 v23, v23, v15 bitop3:0x54
	v_or_b32_e32 v32, v24, v10
	scratch_store_b64 off, v[36:37], off offset:72 ; 8-byte Folded Spill
	s_wait_xcnt 0x0
	v_dual_add_nc_u32 v36, v3, v13 :: v_dual_ashrrev_i32 v35, 31, v34
	v_or_b32_e32 v30, v20, v10
	v_or_b32_e32 v20, v20, v15
	s_delay_alu instid0(VALU_DEP_3)
	v_dual_ashrrev_i32 v37, 31, v36 :: v_dual_bitop2_b32 v24, v24, v15 bitop3:0x54
	scratch_store_b64 off, v[34:35], off offset:48 ; 8-byte Folded Spill
	s_wait_xcnt 0x0
	v_add_nc_u32_e32 v34, v1, v29
	v_dual_add_nc_u32 v15, v4, v14 :: v_dual_bitop2_b32 v17, v17, v15 bitop3:0x54
	s_and_b32 s64, s0, vcc_lo
	v_cmp_lt_i32_e64 s0, -1, v23
	s_delay_alu instid0(VALU_DEP_3) | instskip(NEXT) | instid1(VALU_DEP_3)
	v_ashrrev_i32_e32 v35, 31, v34
	v_cmp_lt_i32_e64 s1, -1, v17
	v_mul_lo_u32 v15, v15, s11
	v_cmp_lt_i32_e64 s4, -1, v31
	s_and_b32 s0, s74, s0
	s_delay_alu instid0(SALU_CYCLE_1)
	s_and_b32 s65, s0, vcc_lo
	s_and_b32 s0, s75, s1
	v_cmp_lt_i32_e64 s1, -1, v25
	s_and_b32 s66, s0, vcc_lo
	v_cmp_lt_i32_e64 s0, -1, v22
	s_and_b32 s4, s78, s4
	v_add_nc_u32_e32 v22, v0, v15
	s_and_b32 s0, s76, s0
	s_delay_alu instid0(SALU_CYCLE_1) | instskip(SKIP_1) | instid1(VALU_DEP_1)
	s_and_b32 s67, s0, vcc_lo
	s_and_b32 s0, s78, s1
	v_ashrrev_i32_e32 v23, 31, v22
	s_and_b32 s68, s0, vcc_lo
	v_cmp_lt_i32_e64 s0, -1, v16
	v_add_nc_u32_e32 v16, v3, v15
	scratch_store_b64 off, v[34:35], off offset:56 ; 8-byte Folded Spill
	s_wait_xcnt 0x0
	v_add_nc_u32_e32 v34, v3, v29
	s_and_b32 s0, s79, s0
	v_ashrrev_i32_e32 v17, 31, v16
	s_and_b32 s69, s0, vcc_lo
	s_delay_alu instid0(VALU_DEP_2)
	v_ashrrev_i32_e32 v35, 31, v34
	scratch_store_b64 off, v[34:35], off offset:64 ; 8-byte Folded Spill
	s_wait_xcnt 0x0
	v_dual_add_nc_u32 v34, v1, v13 :: v_dual_add_nc_u32 v13, v2, v14
	v_subrev_nc_u32_e32 v14, s10, v14
	v_cmp_lt_i32_e64 s2, -1, v24
	s_delay_alu instid0(VALU_DEP_3) | instskip(NEXT) | instid1(VALU_DEP_4)
	v_ashrrev_i32_e32 v35, 31, v34
	v_mul_lo_u32 v13, v13, s11
	v_cmp_lt_i32_e64 s1, -1, v20
	v_dual_add_nc_u32 v5, v5, v14 :: v_dual_add_nc_u32 v2, v2, v14
	s_and_b32 s2, s80, s2
	s_and_b32 s0, s77, s1
	s_delay_alu instid0(VALU_DEP_1)
	v_mul_lo_u32 v5, v5, s11
	s_and_b32 s70, s0, vcc_lo
	v_cmp_gt_i32_e64 s0, s9, v10
	v_cmp_lt_i32_e64 s1, -1, v11
	v_dual_add_nc_u32 v20, v0, v13 :: v_dual_add_nc_u32 v10, v1, v13
	v_dual_add_nc_u32 v12, v3, v13 :: v_dual_add_nc_u32 v4, v4, v14
	v_mul_lo_u32 v2, v2, s11
	s_delay_alu instid0(VALU_DEP_3)
	v_ashrrev_i32_e32 v21, 31, v20
	scratch_store_b64 off, v[34:35], off offset:80 ; 8-byte Folded Spill
	s_wait_xcnt 0x0
	v_dual_add_nc_u32 v34, v1, v15 :: v_dual_ashrrev_i32 v11, 31, v10
	v_ashrrev_i32_e32 v13, 31, v12
	s_and_b32 s1, s72, s1
	s_and_b32 s71, s2, vcc_lo
	s_delay_alu instid0(VALU_DEP_2)
	v_ashrrev_i32_e32 v35, 31, v34
	s_clause 0x1
	scratch_store_b64 off, v[36:37], off offset:88
	scratch_store_b64 off, v[12:13], off offset:136
	s_wait_xcnt 0x0
	v_add_nc_u32_e32 v12, v1, v5
	v_mul_lo_u32 v4, v4, s11
	s_clause 0x1
	scratch_store_b64 off, v[34:35], off offset:104
	scratch_store_b64 off, v[22:23], off offset:96
	s_and_b32 s72, s1, s0
	v_ashrrev_i32_e32 v13, 31, v12
	scratch_store_b64 off, v[20:21], off offset:120 ; 8-byte Folded Spill
	v_cmp_lt_i32_e64 s1, -1, v19
	v_cmp_lt_i32_e32 vcc_lo, -1, v28
	v_cmp_lt_i32_e64 s2, -1, v27
	scratch_store_b64 off, v[12:13], off offset:152 ; 8-byte Folded Spill
	s_and_b32 s73, s3, s0
	s_wait_xcnt 0x0
	v_add_nc_u32_e32 v12, v0, v4
	s_and_b32 s1, s75, s1
	s_and_b32 s3, s74, vcc_lo
	s_and_b32 s75, s1, s0
	s_and_b32 s1, s76, s2
	v_ashrrev_i32_e32 v13, 31, v12
	scratch_store_b64 off, v[10:11], off offset:128 ; 8-byte Folded Spill
	s_wait_xcnt 0x0
	v_dual_add_nc_u32 v10, v0, v5 :: v_dual_add_nc_u32 v56, v3, v4
	v_dual_add_nc_u32 v58, v0, v2 :: v_dual_add_nc_u32 v60, v1, v2
	v_add_nc_u32_e32 v62, v3, v2
	s_delay_alu instid0(VALU_DEP_3)
	v_ashrrev_i32_e32 v11, 31, v10
	scratch_store_b64 off, v[16:17], off offset:112 ; 8-byte Folded Spill
	s_and_b32 s74, s3, s0
	v_cmp_lt_i32_e32 vcc_lo, -1, v26
	v_cmp_lt_i32_e64 s3, -1, v30
	scratch_store_b64 off, v[10:11], off offset:144 ; 8-byte Folded Spill
	s_wait_xcnt 0x0
	v_add_nc_u32_e32 v10, v3, v5
	s_and_b32 s2, s1, s0
	v_cmp_lt_i32_e64 s1, -1, v32
	v_dual_ashrrev_i32 v57, 31, v56 :: v_dual_ashrrev_i32 v59, 31, v58
	s_delay_alu instid0(VALU_DEP_3)
	v_dual_ashrrev_i32 v11, 31, v10 :: v_dual_ashrrev_i32 v61, 31, v60
	v_ashrrev_i32_e32 v63, 31, v62
	s_and_b32 s76, s79, vcc_lo
	s_and_b32 s3, s77, s3
	scratch_store_b64 off, v[10:11], off offset:160 ; 8-byte Folded Spill
	s_wait_xcnt 0x0
	v_add_nc_u32_e32 v10, v1, v4
	s_and_b32 s77, s80, s1
	s_and_b32 s4, s4, s0
	;; [unrolled: 1-line block ×4, first 2 shown]
	v_ashrrev_i32_e32 v11, 31, v10
	s_and_b32 s3, s77, s0
	s_mov_b32 s0, 0
	s_clause 0x1
	scratch_store_b64 off, v[12:13], off offset:168
	scratch_store_b64 off, v[10:11], off offset:176
	s_branch .LBB12_7
.LBB12_6:                               ;   in Loop: Header=BB12_7 Depth=2
	s_wait_xcnt 0x0
	s_or_b32 exec_lo, exec_lo, s77
	s_wait_loadcnt 0x1a
	v_fmac_f64_e32 v[52:53], v[66:67], v[68:69]
	v_dual_add_nc_u32 v54, 1, v54 :: v_dual_add_nc_u32 v64, s29, v64
	v_add_nc_u64_e32 v[8:9], 0xd8, v[8:9]
	s_delay_alu instid0(VALU_DEP_2) | instskip(SKIP_2) | instid1(VALU_DEP_4)
	v_cmp_ge_i32_e32 vcc_lo, v54, v55
	s_or_b32 s0, vcc_lo, s0
	s_wait_loadcnt 0x19
	v_fmac_f64_e32 v[52:53], v[72:73], v[76:77]
	s_wait_loadcnt 0x18
	s_delay_alu instid0(VALU_DEP_1) | instskip(SKIP_1) | instid1(VALU_DEP_1)
	v_fmac_f64_e32 v[52:53], v[78:79], v[74:75]
	s_wait_loadcnt 0x17
	v_fmac_f64_e32 v[52:53], v[80:81], v[84:85]
	s_wait_loadcnt 0x16
	s_delay_alu instid0(VALU_DEP_1) | instskip(SKIP_1) | instid1(VALU_DEP_1)
	v_fmac_f64_e32 v[52:53], v[86:87], v[82:83]
	s_wait_loadcnt 0x15
	v_fmac_f64_e32 v[52:53], v[88:89], v[92:93]
	s_wait_loadcnt 0x14
	s_delay_alu instid0(VALU_DEP_1) | instskip(SKIP_1) | instid1(VALU_DEP_1)
	v_fmac_f64_e32 v[52:53], v[94:95], v[90:91]
	s_wait_loadcnt 0x13
	v_fmac_f64_e32 v[52:53], v[96:97], v[100:101]
	s_wait_loadcnt 0x12
	s_delay_alu instid0(VALU_DEP_1) | instskip(SKIP_1) | instid1(VALU_DEP_1)
	v_fmac_f64_e32 v[52:53], v[102:103], v[98:99]
	s_wait_loadcnt 0x11
	v_fmac_f64_e32 v[52:53], v[104:105], v[108:109]
	s_wait_loadcnt 0x10
	s_delay_alu instid0(VALU_DEP_1) | instskip(SKIP_1) | instid1(VALU_DEP_1)
	v_fmac_f64_e32 v[52:53], v[110:111], v[106:107]
	s_wait_loadcnt 0xf
	v_fmac_f64_e32 v[52:53], v[112:113], v[116:117]
	s_wait_loadcnt 0xe
	s_delay_alu instid0(VALU_DEP_1) | instskip(SKIP_1) | instid1(VALU_DEP_1)
	v_fmac_f64_e32 v[52:53], v[118:119], v[114:115]
	s_wait_loadcnt 0xd
	v_fmac_f64_e32 v[52:53], v[120:121], v[124:125]
	s_wait_loadcnt 0xc
	s_delay_alu instid0(VALU_DEP_1) | instskip(SKIP_1) | instid1(VALU_DEP_1)
	v_fmac_f64_e32 v[52:53], v[126:127], v[122:123]
	s_wait_loadcnt 0xb
	v_fmac_f64_e32 v[52:53], v[2:3], v[0:1]
	s_wait_loadcnt 0xa
	s_delay_alu instid0(VALU_DEP_1) | instskip(SKIP_1) | instid1(VALU_DEP_1)
	v_fmac_f64_e32 v[52:53], v[10:11], v[4:5]
	s_wait_loadcnt 0x9
	v_fmac_f64_e32 v[52:53], v[12:13], v[16:17]
	s_wait_loadcnt 0x8
	s_delay_alu instid0(VALU_DEP_1) | instskip(SKIP_1) | instid1(VALU_DEP_1)
	v_fmac_f64_e32 v[52:53], v[18:19], v[14:15]
	s_wait_loadcnt 0x7
	v_fmac_f64_e32 v[52:53], v[20:21], v[24:25]
	s_wait_loadcnt 0x6
	s_delay_alu instid0(VALU_DEP_1) | instskip(SKIP_1) | instid1(VALU_DEP_1)
	v_fmac_f64_e32 v[52:53], v[26:27], v[22:23]
	s_wait_loadcnt 0x5
	v_fmac_f64_e32 v[52:53], v[28:29], v[32:33]
	s_wait_loadcnt 0x4
	s_delay_alu instid0(VALU_DEP_1) | instskip(SKIP_1) | instid1(VALU_DEP_1)
	v_fmac_f64_e32 v[52:53], v[34:35], v[30:31]
	s_wait_loadcnt 0x3
	v_fmac_f64_e32 v[52:53], v[36:37], v[40:41]
	s_wait_loadcnt 0x2
	s_delay_alu instid0(VALU_DEP_1) | instskip(SKIP_1) | instid1(VALU_DEP_1)
	v_fmac_f64_e32 v[52:53], v[42:43], v[38:39]
	s_wait_loadcnt 0x1
	v_fmac_f64_e32 v[52:53], v[44:45], v[48:49]
	s_wait_loadcnt 0x0
	s_delay_alu instid0(VALU_DEP_1)
	v_fmac_f64_e32 v[52:53], v[50:51], v[46:47]
	s_and_not1_b32 exec_lo, exec_lo, s0
	s_cbranch_execz .LBB12_2
.LBB12_7:                               ;   Parent Loop BB12_4 Depth=1
                                        ; =>  This Inner Loop Header: Depth=2
	global_load_b64 v[66:67], v[8:9], off
	v_ashrrev_i32_e32 v65, 31, v64
	v_mov_b64_e32 v[68:69], 0
	s_delay_alu instid0(VALU_DEP_2)
	v_lshl_add_u64 v[70:71], v[64:65], 3, v[6:7]
	s_wait_xcnt 0x0
	s_and_saveexec_b32 s77, s54
	s_cbranch_execz .LBB12_9
; %bb.8:                                ;   in Loop: Header=BB12_7 Depth=2
	scratch_load_b64 v[0:1], off, off       ; 8-byte Folded Reload
	s_wait_loadcnt 0x0
	v_lshl_add_u64 v[0:1], v[0:1], 3, v[70:71]
	global_load_b64 v[68:69], v[0:1], off
.LBB12_9:                               ;   in Loop: Header=BB12_7 Depth=2
	s_wait_xcnt 0x0
	s_or_b32 exec_lo, exec_lo, s77
	global_load_b64 v[72:73], v[8:9], off offset:8
	v_mov_b64_e32 v[74:75], 0
	v_mov_b64_e32 v[76:77], 0
	s_wait_xcnt 0x0
	s_and_saveexec_b32 s77, s55
	s_cbranch_execz .LBB12_11
; %bb.10:                               ;   in Loop: Header=BB12_7 Depth=2
	scratch_load_b64 v[0:1], off, off offset:8 ; 8-byte Folded Reload
	s_wait_loadcnt 0x0
	v_lshl_add_u64 v[0:1], v[0:1], 3, v[70:71]
	global_load_b64 v[76:77], v[0:1], off
.LBB12_11:                              ;   in Loop: Header=BB12_7 Depth=2
	s_wait_xcnt 0x0
	s_or_b32 exec_lo, exec_lo, s77
	global_load_b64 v[78:79], v[8:9], off offset:16
	s_wait_xcnt 0x0
	s_and_saveexec_b32 s77, s56
	s_cbranch_execz .LBB12_13
; %bb.12:                               ;   in Loop: Header=BB12_7 Depth=2
	scratch_load_b64 v[0:1], off, off offset:16 ; 8-byte Folded Reload
	s_wait_loadcnt 0x0
	v_lshl_add_u64 v[0:1], v[0:1], 3, v[70:71]
	global_load_b64 v[74:75], v[0:1], off
.LBB12_13:                              ;   in Loop: Header=BB12_7 Depth=2
	s_wait_xcnt 0x0
	s_or_b32 exec_lo, exec_lo, s77
	global_load_b64 v[80:81], v[8:9], off offset:24
	v_mov_b64_e32 v[82:83], 0
	v_mov_b64_e32 v[84:85], 0
	s_wait_xcnt 0x0
	s_and_saveexec_b32 s77, s57
	s_cbranch_execz .LBB12_15
; %bb.14:                               ;   in Loop: Header=BB12_7 Depth=2
	scratch_load_b64 v[0:1], off, off offset:24 ; 8-byte Folded Reload
	s_wait_loadcnt 0x0
	v_lshl_add_u64 v[0:1], v[0:1], 3, v[70:71]
	global_load_b64 v[84:85], v[0:1], off
.LBB12_15:                              ;   in Loop: Header=BB12_7 Depth=2
	s_wait_xcnt 0x0
	s_or_b32 exec_lo, exec_lo, s77
	global_load_b64 v[86:87], v[8:9], off offset:32
	s_wait_xcnt 0x0
	s_and_saveexec_b32 s77, s58
	s_cbranch_execz .LBB12_17
; %bb.16:                               ;   in Loop: Header=BB12_7 Depth=2
	scratch_load_b64 v[0:1], off, off offset:32 ; 8-byte Folded Reload
	s_wait_loadcnt 0x0
	v_lshl_add_u64 v[0:1], v[0:1], 3, v[70:71]
	global_load_b64 v[82:83], v[0:1], off
.LBB12_17:                              ;   in Loop: Header=BB12_7 Depth=2
	;; [unrolled: 26-line block ×11, first 2 shown]
	s_wait_xcnt 0x0
	s_or_b32 exec_lo, exec_lo, s77
	global_load_b64 v[36:37], v[8:9], off offset:184
	v_mov_b64_e32 v[38:39], 0
	v_mov_b64_e32 v[40:41], 0
	s_wait_xcnt 0x0
	s_and_saveexec_b32 s77, s4
	s_cbranch_execz .LBB12_55
; %bb.54:                               ;   in Loop: Header=BB12_7 Depth=2
	v_lshl_add_u64 v[40:41], v[56:57], 3, v[70:71]
	global_load_b64 v[40:41], v[40:41], off
.LBB12_55:                              ;   in Loop: Header=BB12_7 Depth=2
	s_wait_xcnt 0x0
	s_or_b32 exec_lo, exec_lo, s77
	global_load_b64 v[42:43], v[8:9], off offset:192
	s_wait_xcnt 0x0
	s_and_saveexec_b32 s77, s76
	s_cbranch_execz .LBB12_57
; %bb.56:                               ;   in Loop: Header=BB12_7 Depth=2
	v_lshl_add_u64 v[38:39], v[58:59], 3, v[70:71]
	global_load_b64 v[38:39], v[38:39], off
.LBB12_57:                              ;   in Loop: Header=BB12_7 Depth=2
	s_wait_xcnt 0x0
	s_or_b32 exec_lo, exec_lo, s77
	global_load_b64 v[44:45], v[8:9], off offset:200
	v_mov_b64_e32 v[46:47], 0
	v_mov_b64_e32 v[48:49], 0
	s_wait_xcnt 0x0
	s_and_saveexec_b32 s77, s1
	s_cbranch_execz .LBB12_59
; %bb.58:                               ;   in Loop: Header=BB12_7 Depth=2
	v_lshl_add_u64 v[48:49], v[60:61], 3, v[70:71]
	global_load_b64 v[48:49], v[48:49], off
.LBB12_59:                              ;   in Loop: Header=BB12_7 Depth=2
	s_wait_xcnt 0x0
	s_or_b32 exec_lo, exec_lo, s77
	global_load_b64 v[50:51], v[8:9], off offset:208
	s_wait_xcnt 0x0
	s_and_saveexec_b32 s77, s3
	s_cbranch_execz .LBB12_6
; %bb.60:                               ;   in Loop: Header=BB12_7 Depth=2
	v_lshl_add_u64 v[46:47], v[62:63], 3, v[70:71]
	global_load_b64 v[46:47], v[46:47], off
	s_branch .LBB12_6
.LBB12_61:                              ;   in Loop: Header=BB12_4 Depth=1
	v_mov_b64_e32 v[52:53], 0
	s_branch .LBB12_3
.LBB12_62:
	s_sendmsg sendmsg(MSG_DEALLOC_VGPRS)
	s_endpgm
	.section	.rodata,"a",@progbits
	.p2align	6, 0x0
	.amdhsa_kernel _ZN2at6native12_GLOBAL__N_143conv_depthwise3d_cuda_backward_input_kernelIddLi3ELi3ELi3ELi1ELi1ELi1ELi1ELi1ELi1EEEvN5torch10headeronly6detail27GenericPackedTensorAccessorINS5_14TensorAccessorIN3c108ArrayRefIlEEKT_Lm4ENS4_16DefaultPtrTraitsEiEENS_6detail16IndexBoundsCheckILm5EiEESC_Lm5ESD_iEENS6_INS7_ISA_SB_Lm4ESD_iEESH_SB_Lm5ESD_iEESI_iiiiiiiii
		.amdhsa_group_segment_fixed_size 0
		.amdhsa_private_segment_fixed_size 224
		.amdhsa_kernarg_size 440
		.amdhsa_user_sgpr_count 2
		.amdhsa_user_sgpr_dispatch_ptr 0
		.amdhsa_user_sgpr_queue_ptr 0
		.amdhsa_user_sgpr_kernarg_segment_ptr 1
		.amdhsa_user_sgpr_dispatch_id 0
		.amdhsa_user_sgpr_kernarg_preload_length 0
		.amdhsa_user_sgpr_kernarg_preload_offset 0
		.amdhsa_user_sgpr_private_segment_size 0
		.amdhsa_wavefront_size32 1
		.amdhsa_uses_dynamic_stack 0
		.amdhsa_enable_private_segment 1
		.amdhsa_system_sgpr_workgroup_id_x 1
		.amdhsa_system_sgpr_workgroup_id_y 0
		.amdhsa_system_sgpr_workgroup_id_z 0
		.amdhsa_system_sgpr_workgroup_info 0
		.amdhsa_system_vgpr_workitem_id 0
		.amdhsa_next_free_vgpr 128
		.amdhsa_next_free_sgpr 81
		.amdhsa_named_barrier_count 0
		.amdhsa_reserve_vcc 1
		.amdhsa_float_round_mode_32 0
		.amdhsa_float_round_mode_16_64 0
		.amdhsa_float_denorm_mode_32 3
		.amdhsa_float_denorm_mode_16_64 3
		.amdhsa_fp16_overflow 0
		.amdhsa_memory_ordered 1
		.amdhsa_forward_progress 1
		.amdhsa_inst_pref_size 42
		.amdhsa_round_robin_scheduling 0
		.amdhsa_exception_fp_ieee_invalid_op 0
		.amdhsa_exception_fp_denorm_src 0
		.amdhsa_exception_fp_ieee_div_zero 0
		.amdhsa_exception_fp_ieee_overflow 0
		.amdhsa_exception_fp_ieee_underflow 0
		.amdhsa_exception_fp_ieee_inexact 0
		.amdhsa_exception_int_div_zero 0
	.end_amdhsa_kernel
	.section	.text._ZN2at6native12_GLOBAL__N_143conv_depthwise3d_cuda_backward_input_kernelIddLi3ELi3ELi3ELi1ELi1ELi1ELi1ELi1ELi1EEEvN5torch10headeronly6detail27GenericPackedTensorAccessorINS5_14TensorAccessorIN3c108ArrayRefIlEEKT_Lm4ENS4_16DefaultPtrTraitsEiEENS_6detail16IndexBoundsCheckILm5EiEESC_Lm5ESD_iEENS6_INS7_ISA_SB_Lm4ESD_iEESH_SB_Lm5ESD_iEESI_iiiiiiiii,"axG",@progbits,_ZN2at6native12_GLOBAL__N_143conv_depthwise3d_cuda_backward_input_kernelIddLi3ELi3ELi3ELi1ELi1ELi1ELi1ELi1ELi1EEEvN5torch10headeronly6detail27GenericPackedTensorAccessorINS5_14TensorAccessorIN3c108ArrayRefIlEEKT_Lm4ENS4_16DefaultPtrTraitsEiEENS_6detail16IndexBoundsCheckILm5EiEESC_Lm5ESD_iEENS6_INS7_ISA_SB_Lm4ESD_iEESH_SB_Lm5ESD_iEESI_iiiiiiiii,comdat
.Lfunc_end12:
	.size	_ZN2at6native12_GLOBAL__N_143conv_depthwise3d_cuda_backward_input_kernelIddLi3ELi3ELi3ELi1ELi1ELi1ELi1ELi1ELi1EEEvN5torch10headeronly6detail27GenericPackedTensorAccessorINS5_14TensorAccessorIN3c108ArrayRefIlEEKT_Lm4ENS4_16DefaultPtrTraitsEiEENS_6detail16IndexBoundsCheckILm5EiEESC_Lm5ESD_iEENS6_INS7_ISA_SB_Lm4ESD_iEESH_SB_Lm5ESD_iEESI_iiiiiiiii, .Lfunc_end12-_ZN2at6native12_GLOBAL__N_143conv_depthwise3d_cuda_backward_input_kernelIddLi3ELi3ELi3ELi1ELi1ELi1ELi1ELi1ELi1EEEvN5torch10headeronly6detail27GenericPackedTensorAccessorINS5_14TensorAccessorIN3c108ArrayRefIlEEKT_Lm4ENS4_16DefaultPtrTraitsEiEENS_6detail16IndexBoundsCheckILm5EiEESC_Lm5ESD_iEENS6_INS7_ISA_SB_Lm4ESD_iEESH_SB_Lm5ESD_iEESI_iiiiiiiii
                                        ; -- End function
	.set _ZN2at6native12_GLOBAL__N_143conv_depthwise3d_cuda_backward_input_kernelIddLi3ELi3ELi3ELi1ELi1ELi1ELi1ELi1ELi1EEEvN5torch10headeronly6detail27GenericPackedTensorAccessorINS5_14TensorAccessorIN3c108ArrayRefIlEEKT_Lm4ENS4_16DefaultPtrTraitsEiEENS_6detail16IndexBoundsCheckILm5EiEESC_Lm5ESD_iEENS6_INS7_ISA_SB_Lm4ESD_iEESH_SB_Lm5ESD_iEESI_iiiiiiiii.num_vgpr, 128
	.set _ZN2at6native12_GLOBAL__N_143conv_depthwise3d_cuda_backward_input_kernelIddLi3ELi3ELi3ELi1ELi1ELi1ELi1ELi1ELi1EEEvN5torch10headeronly6detail27GenericPackedTensorAccessorINS5_14TensorAccessorIN3c108ArrayRefIlEEKT_Lm4ENS4_16DefaultPtrTraitsEiEENS_6detail16IndexBoundsCheckILm5EiEESC_Lm5ESD_iEENS6_INS7_ISA_SB_Lm4ESD_iEESH_SB_Lm5ESD_iEESI_iiiiiiiii.num_agpr, 0
	.set _ZN2at6native12_GLOBAL__N_143conv_depthwise3d_cuda_backward_input_kernelIddLi3ELi3ELi3ELi1ELi1ELi1ELi1ELi1ELi1EEEvN5torch10headeronly6detail27GenericPackedTensorAccessorINS5_14TensorAccessorIN3c108ArrayRefIlEEKT_Lm4ENS4_16DefaultPtrTraitsEiEENS_6detail16IndexBoundsCheckILm5EiEESC_Lm5ESD_iEENS6_INS7_ISA_SB_Lm4ESD_iEESH_SB_Lm5ESD_iEESI_iiiiiiiii.numbered_sgpr, 81
	.set _ZN2at6native12_GLOBAL__N_143conv_depthwise3d_cuda_backward_input_kernelIddLi3ELi3ELi3ELi1ELi1ELi1ELi1ELi1ELi1EEEvN5torch10headeronly6detail27GenericPackedTensorAccessorINS5_14TensorAccessorIN3c108ArrayRefIlEEKT_Lm4ENS4_16DefaultPtrTraitsEiEENS_6detail16IndexBoundsCheckILm5EiEESC_Lm5ESD_iEENS6_INS7_ISA_SB_Lm4ESD_iEESH_SB_Lm5ESD_iEESI_iiiiiiiii.num_named_barrier, 0
	.set _ZN2at6native12_GLOBAL__N_143conv_depthwise3d_cuda_backward_input_kernelIddLi3ELi3ELi3ELi1ELi1ELi1ELi1ELi1ELi1EEEvN5torch10headeronly6detail27GenericPackedTensorAccessorINS5_14TensorAccessorIN3c108ArrayRefIlEEKT_Lm4ENS4_16DefaultPtrTraitsEiEENS_6detail16IndexBoundsCheckILm5EiEESC_Lm5ESD_iEENS6_INS7_ISA_SB_Lm4ESD_iEESH_SB_Lm5ESD_iEESI_iiiiiiiii.private_seg_size, 224
	.set _ZN2at6native12_GLOBAL__N_143conv_depthwise3d_cuda_backward_input_kernelIddLi3ELi3ELi3ELi1ELi1ELi1ELi1ELi1ELi1EEEvN5torch10headeronly6detail27GenericPackedTensorAccessorINS5_14TensorAccessorIN3c108ArrayRefIlEEKT_Lm4ENS4_16DefaultPtrTraitsEiEENS_6detail16IndexBoundsCheckILm5EiEESC_Lm5ESD_iEENS6_INS7_ISA_SB_Lm4ESD_iEESH_SB_Lm5ESD_iEESI_iiiiiiiii.uses_vcc, 1
	.set _ZN2at6native12_GLOBAL__N_143conv_depthwise3d_cuda_backward_input_kernelIddLi3ELi3ELi3ELi1ELi1ELi1ELi1ELi1ELi1EEEvN5torch10headeronly6detail27GenericPackedTensorAccessorINS5_14TensorAccessorIN3c108ArrayRefIlEEKT_Lm4ENS4_16DefaultPtrTraitsEiEENS_6detail16IndexBoundsCheckILm5EiEESC_Lm5ESD_iEENS6_INS7_ISA_SB_Lm4ESD_iEESH_SB_Lm5ESD_iEESI_iiiiiiiii.uses_flat_scratch, 1
	.set _ZN2at6native12_GLOBAL__N_143conv_depthwise3d_cuda_backward_input_kernelIddLi3ELi3ELi3ELi1ELi1ELi1ELi1ELi1ELi1EEEvN5torch10headeronly6detail27GenericPackedTensorAccessorINS5_14TensorAccessorIN3c108ArrayRefIlEEKT_Lm4ENS4_16DefaultPtrTraitsEiEENS_6detail16IndexBoundsCheckILm5EiEESC_Lm5ESD_iEENS6_INS7_ISA_SB_Lm4ESD_iEESH_SB_Lm5ESD_iEESI_iiiiiiiii.has_dyn_sized_stack, 0
	.set _ZN2at6native12_GLOBAL__N_143conv_depthwise3d_cuda_backward_input_kernelIddLi3ELi3ELi3ELi1ELi1ELi1ELi1ELi1ELi1EEEvN5torch10headeronly6detail27GenericPackedTensorAccessorINS5_14TensorAccessorIN3c108ArrayRefIlEEKT_Lm4ENS4_16DefaultPtrTraitsEiEENS_6detail16IndexBoundsCheckILm5EiEESC_Lm5ESD_iEENS6_INS7_ISA_SB_Lm4ESD_iEESH_SB_Lm5ESD_iEESI_iiiiiiiii.has_recursion, 0
	.set _ZN2at6native12_GLOBAL__N_143conv_depthwise3d_cuda_backward_input_kernelIddLi3ELi3ELi3ELi1ELi1ELi1ELi1ELi1ELi1EEEvN5torch10headeronly6detail27GenericPackedTensorAccessorINS5_14TensorAccessorIN3c108ArrayRefIlEEKT_Lm4ENS4_16DefaultPtrTraitsEiEENS_6detail16IndexBoundsCheckILm5EiEESC_Lm5ESD_iEENS6_INS7_ISA_SB_Lm4ESD_iEESH_SB_Lm5ESD_iEESI_iiiiiiiii.has_indirect_call, 0
	.section	.AMDGPU.csdata,"",@progbits
; Kernel info:
; codeLenInByte = 5304
; TotalNumSgprs: 83
; NumVgprs: 128
; ScratchSize: 224
; MemoryBound: 0
; FloatMode: 240
; IeeeMode: 1
; LDSByteSize: 0 bytes/workgroup (compile time only)
; SGPRBlocks: 0
; VGPRBlocks: 7
; NumSGPRsForWavesPerEU: 83
; NumVGPRsForWavesPerEU: 128
; NamedBarCnt: 0
; Occupancy: 8
; WaveLimiterHint : 0
; COMPUTE_PGM_RSRC2:SCRATCH_EN: 1
; COMPUTE_PGM_RSRC2:USER_SGPR: 2
; COMPUTE_PGM_RSRC2:TRAP_HANDLER: 0
; COMPUTE_PGM_RSRC2:TGID_X_EN: 1
; COMPUTE_PGM_RSRC2:TGID_Y_EN: 0
; COMPUTE_PGM_RSRC2:TGID_Z_EN: 0
; COMPUTE_PGM_RSRC2:TIDIG_COMP_CNT: 0
	.section	.text._ZN2at6native12_GLOBAL__N_143conv_depthwise3d_cuda_backward_input_kernelIddLi3ELi3ELi3ELi1ELi1ELi1ELin1ELin1ELin1EEEvN5torch10headeronly6detail27GenericPackedTensorAccessorINS5_14TensorAccessorIN3c108ArrayRefIlEEKT_Lm4ENS4_16DefaultPtrTraitsEiEENS_6detail16IndexBoundsCheckILm5EiEESC_Lm5ESD_iEENS6_INS7_ISA_SB_Lm4ESD_iEESH_SB_Lm5ESD_iEESI_iiiiiiiii,"axG",@progbits,_ZN2at6native12_GLOBAL__N_143conv_depthwise3d_cuda_backward_input_kernelIddLi3ELi3ELi3ELi1ELi1ELi1ELin1ELin1ELin1EEEvN5torch10headeronly6detail27GenericPackedTensorAccessorINS5_14TensorAccessorIN3c108ArrayRefIlEEKT_Lm4ENS4_16DefaultPtrTraitsEiEENS_6detail16IndexBoundsCheckILm5EiEESC_Lm5ESD_iEENS6_INS7_ISA_SB_Lm4ESD_iEESH_SB_Lm5ESD_iEESI_iiiiiiiii,comdat
	.globl	_ZN2at6native12_GLOBAL__N_143conv_depthwise3d_cuda_backward_input_kernelIddLi3ELi3ELi3ELi1ELi1ELi1ELin1ELin1ELin1EEEvN5torch10headeronly6detail27GenericPackedTensorAccessorINS5_14TensorAccessorIN3c108ArrayRefIlEEKT_Lm4ENS4_16DefaultPtrTraitsEiEENS_6detail16IndexBoundsCheckILm5EiEESC_Lm5ESD_iEENS6_INS7_ISA_SB_Lm4ESD_iEESH_SB_Lm5ESD_iEESI_iiiiiiiii ; -- Begin function _ZN2at6native12_GLOBAL__N_143conv_depthwise3d_cuda_backward_input_kernelIddLi3ELi3ELi3ELi1ELi1ELi1ELin1ELin1ELin1EEEvN5torch10headeronly6detail27GenericPackedTensorAccessorINS5_14TensorAccessorIN3c108ArrayRefIlEEKT_Lm4ENS4_16DefaultPtrTraitsEiEENS_6detail16IndexBoundsCheckILm5EiEESC_Lm5ESD_iEENS6_INS7_ISA_SB_Lm4ESD_iEESH_SB_Lm5ESD_iEESI_iiiiiiiii
	.p2align	8
	.type	_ZN2at6native12_GLOBAL__N_143conv_depthwise3d_cuda_backward_input_kernelIddLi3ELi3ELi3ELi1ELi1ELi1ELin1ELin1ELin1EEEvN5torch10headeronly6detail27GenericPackedTensorAccessorINS5_14TensorAccessorIN3c108ArrayRefIlEEKT_Lm4ENS4_16DefaultPtrTraitsEiEENS_6detail16IndexBoundsCheckILm5EiEESC_Lm5ESD_iEENS6_INS7_ISA_SB_Lm4ESD_iEESH_SB_Lm5ESD_iEESI_iiiiiiiii,@function
_ZN2at6native12_GLOBAL__N_143conv_depthwise3d_cuda_backward_input_kernelIddLi3ELi3ELi3ELi1ELi1ELi1ELin1ELin1ELin1EEEvN5torch10headeronly6detail27GenericPackedTensorAccessorINS5_14TensorAccessorIN3c108ArrayRefIlEEKT_Lm4ENS4_16DefaultPtrTraitsEiEENS_6detail16IndexBoundsCheckILm5EiEESC_Lm5ESD_iEENS6_INS7_ISA_SB_Lm4ESD_iEESH_SB_Lm5ESD_iEESI_iiiiiiiii: ; @_ZN2at6native12_GLOBAL__N_143conv_depthwise3d_cuda_backward_input_kernelIddLi3ELi3ELi3ELi1ELi1ELi1ELin1ELin1ELin1EEEvN5torch10headeronly6detail27GenericPackedTensorAccessorINS5_14TensorAccessorIN3c108ArrayRefIlEEKT_Lm4ENS4_16DefaultPtrTraitsEiEENS_6detail16IndexBoundsCheckILm5EiEESC_Lm5ESD_iEENS6_INS7_ISA_SB_Lm4ESD_iEESH_SB_Lm5ESD_iEESI_iiiiiiiii
; %bb.0:
	s_clause 0x2
	s_load_b128 s[36:39], s[0:1], 0x38
	s_load_b32 s2, s[0:1], 0xc4
	s_load_b64 s[34:35], s[0:1], 0x48
	s_bfe_u32 s3, ttmp6, 0x4000c
	s_and_b32 s4, ttmp6, 15
	s_add_co_i32 s3, s3, 1
	s_getreg_b32 s5, hwreg(HW_REG_IB_STS2, 6, 4)
	s_mul_i32 s3, ttmp9, s3
	v_mov_b32_e32 v1, 0
	s_add_co_i32 s4, s4, s3
                                        ; implicit-def: $vgpr127 : SGPR spill to VGPR lane
	s_wait_kmcnt 0x0
	s_abs_i32 s31, s37
	s_and_b32 s2, s2, 0xffff
	s_cmp_eq_u32 s5, 0
	s_cselect_b32 s3, ttmp9, s4
	s_mul_i32 s4, s35, s36
	v_mad_nc_u64_u32 v[14:15], s2, s3, v[0:1]
	s_cvt_f32_u32 s3, s31
	s_ashr_i32 s5, s4, 31
	v_writelane_b32 v127, s4, 0
	s_delay_alu instid0(SALU_CYCLE_1) | instskip(SKIP_1) | instid1(VALU_DEP_3)
	v_rcp_iflag_f32_e32 v0, s3
	v_writelane_b32 v127, s5, 1
	v_cmp_gt_i64_e32 vcc_lo, s[4:5], v[14:15]
	s_delay_alu instid0(TRANS32_DEP_1)
	v_readfirstlane_b32 s3, v0
	s_and_saveexec_b32 s4, vcc_lo
	s_cbranch_execz .LBB13_62
; %bb.1:
	s_clause 0x3
	s_load_b64 s[12:13], s[0:1], 0xa0
	s_load_b128 s[44:47], s[0:1], 0x90
	s_load_b32 s9, s[0:1], 0x7c
	s_load_b128 s[40:43], s[0:1], 0xc
	s_mul_f32 s3, s3, 0x4f7ffffe
	s_sub_co_i32 s8, 0, s31
	s_add_nc_u64 s[6:7], s[0:1], 0xb8
	s_mov_b32 s11, 0
	s_cvt_u32_f32 s3, s3
	s_mov_b32 s5, s11
	s_ashr_i32 s55, s37, 31
                                        ; kill: killed $sgpr0_sgpr1
	s_mov_b32 s15, s11
	s_mul_i32 s4, s8, s3
	s_mov_b32 s75, s11
	s_mul_hi_u32 s4, s3, s4
	s_mov_b32 s77, s11
	s_add_co_i32 s4, s3, s4
	s_load_b32 s3, s[6:7], 0x0
	s_mov_b32 s79, s11
	s_load_b128 s[48:51], s[0:1], 0x50
	s_wait_kmcnt 0x0
	v_writelane_b32 v127, s12, 2
	v_writelane_b32 v127, s13, 3
	s_load_b64 s[12:13], s[0:1], 0x0
	s_abs_i32 s10, s40
	s_delay_alu instid0(SALU_CYCLE_1)
	s_mul_u64 s[4:5], s[10:11], s[4:5]
	v_writelane_b32 v127, s9, 4
	s_mul_i32 s6, s5, s31
	s_ashr_i32 s4, s40, 31
	s_sub_co_i32 s6, s10, s6
	s_xor_b32 s4, s4, s55
	s_add_co_i32 s7, s5, 1
	s_sub_co_i32 s9, s6, s31
	s_cmp_ge_u32 s6, s31
	s_mul_i32 s10, s3, s2
	s_cselect_b32 s5, s7, s5
	s_cselect_b32 s6, s9, s6
	s_add_co_i32 s7, s5, 1
	s_cmp_ge_u32 s6, s31
	s_wait_kmcnt 0x0
	v_writelane_b32 v127, s12, 5
	v_writelane_b32 v127, s13, 6
	s_clause 0x1
	s_load_b64 s[60:61], s[0:1], 0x1c
	s_load_b64 s[12:13], s[0:1], 0x30
	s_wait_kmcnt 0x0
	v_writelane_b32 v127, s12, 7
	v_writelane_b32 v127, s13, 8
	s_load_b64 s[12:13], s[0:1], 0x60
	s_wait_xcnt 0x0
	s_cselect_b32 s0, s7, s5
	s_delay_alu instid0(SALU_CYCLE_1) | instskip(NEXT) | instid1(SALU_CYCLE_1)
	s_xor_b32 s0, s0, s4
	s_sub_co_i32 s40, s0, s4
	v_readfirstlane_b32 s0, v0
	s_cmp_gt_i32 s40, 0
	s_cselect_b32 s1, -1, 0
	s_abs_i32 s81, s34
	s_abs_i32 s82, s39
	s_ashr_i32 s4, s34, 31
	s_cvt_f32_u32 s2, s82
	s_abs_i32 s83, s38
	s_sub_co_i32 s5, 0, s82
	s_cvt_f32_u32 s3, s83
	v_rcp_iflag_f32_e32 v2, s2
	s_abs_i32 s87, s44
	s_sub_co_i32 s6, 0, s83
	s_wait_kmcnt 0x0
	v_writelane_b32 v127, s12, 9
	v_rcp_iflag_f32_e32 v3, s3
	s_cvt_f32_u32 s7, s87
	s_abs_i32 s88, s45
	v_nop
	v_readfirstlane_b32 s3, v2
	v_writelane_b32 v127, s13, 10
	s_mov_b32 s13, s11
	s_mul_f32 s0, s0, 0x4f7ffffe
	s_abs_i32 s89, s46
	s_mul_f32 s3, s3, 0x4f7ffffe
	v_writelane_b32 v127, s1, 11
	s_cvt_f32_u32 s1, s81
	s_cvt_u32_f32 s0, s0
	s_cvt_u32_f32 s3, s3
	s_ashr_i32 s90, s44, 31
	v_rcp_iflag_f32_e32 v0, s1
	v_writelane_b32 v127, s4, 12
	s_ashr_i32 s1, s39, 31
	v_readfirstlane_b32 s4, v3
	s_mul_i32 s5, s5, s3
	s_mul_i32 s8, s8, s0
	v_writelane_b32 v127, s1, 13
	v_readfirstlane_b32 s2, v0
	s_ashr_i32 s1, s38, 31
	s_mul_f32 s4, s4, 0x4f7ffffe
	s_mul_hi_u32 s5, s3, s5
	v_writelane_b32 v127, s1, 14
	s_mul_f32 s2, s2, 0x4f7ffffe
	s_sub_co_i32 s1, 0, s81
	s_cvt_u32_f32 s4, s4
	s_add_co_i32 s14, s3, s5
	s_cvt_u32_f32 s2, s2
	v_rcp_iflag_f32_e32 v0, s7
	s_mul_i32 s6, s6, s4
	s_mov_b32 s5, s11
	s_mul_i32 s1, s1, s2
	s_mul_hi_u32 s3, s0, s8
	s_mul_hi_u32 s1, s2, s1
	s_mov_b32 s7, s11
	s_add_co_i32 s12, s2, s1
	s_mul_hi_u32 s1, s4, s6
	v_writelane_b32 v127, s12, 15
	s_add_co_i32 s4, s4, s1
	s_cvt_f32_u32 s1, s88
	v_readfirstlane_b32 s2, v0
	s_add_co_i32 s6, s0, s3
	v_writelane_b32 v127, s13, 16
	v_rcp_iflag_f32_e32 v0, s1
	s_cvt_f32_u32 s1, s89
	s_mul_f32 s2, s2, 0x4f7ffffe
	s_ashr_i32 s91, s45, 31
	v_writelane_b32 v127, s14, 17
	v_rcp_iflag_f32_e32 v2, s1
	s_cvt_u32_f32 s2, s2
	v_nop
	v_readfirstlane_b32 s1, v0
	s_ashr_i32 s92, s46, 31
	v_writelane_b32 v127, s15, 18
	s_delay_alu instid0(TRANS32_DEP_1) | instskip(SKIP_4) | instid1(SALU_CYCLE_1)
	v_readfirstlane_b32 s3, v2
	s_mul_f32 s1, s1, 0x4f7ffffe
	v_writelane_b32 v127, s4, 19
	v_writelane_b32 v127, s5, 20
	s_sub_co_i32 s4, 0, s87
	s_mul_i32 s4, s4, s2
	v_writelane_b32 v127, s6, 21
	s_mul_hi_u32 s0, s2, s4
	s_delay_alu instid0(SALU_CYCLE_1)
	s_add_co_i32 s74, s2, s0
	s_cvt_u32_f32 s0, s1
	v_writelane_b32 v127, s7, 22
	s_mul_f32 s1, s3, 0x4f7ffffe
	s_sub_co_i32 s2, 0, s88
	s_sub_co_i32 s3, 0, s89
	s_mul_i32 s2, s2, s0
	s_cvt_u32_f32 s1, s1
	v_writelane_b32 v127, s10, 23
	s_mul_hi_u32 s2, s0, s2
	s_mov_b32 s93, s11
	s_mul_i32 s3, s3, s1
	s_add_co_i32 s76, s0, s2
	v_writelane_b32 v127, s11, 24
	s_mul_hi_u32 s0, s1, s3
	s_delay_alu instid0(SALU_CYCLE_1)
	s_add_co_i32 s78, s1, s0
	s_branch .LBB13_4
.LBB13_2:                               ;   in Loop: Header=BB13_4 Depth=1
	s_or_b32 exec_lo, exec_lo, s94
	s_clause 0x4
	scratch_load_b64 v[14:15], off, off offset:200
	scratch_load_b32 v8, off, off offset:208
	scratch_load_b32 v0, off, off offset:212
	;; [unrolled: 1-line block ×4, first 2 shown]
.LBB13_3:                               ;   in Loop: Header=BB13_4 Depth=1
	s_wait_loadcnt 0x1
	v_mul_lo_u32 v2, v19, s35
	s_wait_loadcnt 0x0
	v_mul_lo_u32 v4, s48, v20
	v_mul_lo_u32 v6, s49, v0
	v_readlane_b32 s0, v127, 7
	v_readlane_b32 s1, v127, 8
	v_mul_lo_u32 v8, s50, v8
	v_mul_lo_u32 v10, s51, v61
	v_dual_ashrrev_i32 v3, 31, v2 :: v_dual_ashrrev_i32 v5, 31, v4
	s_delay_alu instid0(VALU_DEP_3) | instskip(NEXT) | instid1(VALU_DEP_2)
	v_dual_ashrrev_i32 v7, 31, v6 :: v_dual_ashrrev_i32 v9, 31, v8
	v_lshl_add_u64 v[2:3], v[2:3], 3, s[0:1]
	v_readlane_b32 s0, v127, 23
	v_readlane_b32 s1, v127, 24
	v_ashrrev_i32_e32 v11, 31, v10
	s_delay_alu instid0(VALU_DEP_4) | instskip(NEXT) | instid1(VALU_DEP_3)
	v_lshl_add_u64 v[2:3], v[4:5], 3, v[2:3]
	v_add_nc_u64_e32 v[14:15], s[0:1], v[14:15]
	v_readlane_b32 s0, v127, 0
	v_readlane_b32 s1, v127, 1
	s_delay_alu instid0(VALU_DEP_4) | instskip(NEXT) | instid1(VALU_DEP_2)
	v_lshl_add_u64 v[2:3], v[6:7], 3, v[2:3]
	v_cmp_le_i64_e32 vcc_lo, s[0:1], v[14:15]
	s_delay_alu instid0(VALU_DEP_2) | instskip(NEXT) | instid1(VALU_DEP_1)
	v_lshl_add_u64 v[2:3], v[8:9], 3, v[2:3]
	v_lshl_add_u64 v[2:3], v[10:11], 3, v[2:3]
	s_or_b32 s93, vcc_lo, s93
	global_store_b64 v[2:3], v[12:13], off
	s_wait_xcnt 0x0
	s_and_not1_b32 exec_lo, exec_lo, s93
	s_cbranch_execz .LBB13_62
.LBB13_4:                               ; =>This Loop Header: Depth=1
                                        ;     Child Loop BB13_7 Depth 2
	v_sub_nc_u32_e32 v0, 0, v14
	v_readlane_b32 s0, v127, 15
	v_readlane_b32 s1, v127, 16
	s_delay_alu instid0(VALU_DEP_3) | instskip(NEXT) | instid1(VALU_DEP_1)
	v_max_i32_e32 v0, v14, v0
	v_mul_u64_e32 v[2:3], s[0:1], v[0:1]
	v_readlane_b32 s0, v127, 12
	s_delay_alu instid0(VALU_DEP_2) | instskip(NEXT) | instid1(VALU_DEP_1)
	v_mul_lo_u32 v2, v3, s81
	v_dual_sub_nc_u32 v0, v0, v2 :: v_dual_add_nc_u32 v2, 1, v3
	s_delay_alu instid0(VALU_DEP_1) | instskip(SKIP_1) | instid1(VALU_DEP_3)
	v_subrev_nc_u32_e32 v4, s81, v0
	v_cmp_le_u32_e32 vcc_lo, s81, v0
	v_cndmask_b32_e32 v2, v3, v2, vcc_lo
	s_delay_alu instid0(VALU_DEP_3) | instskip(NEXT) | instid1(VALU_DEP_2)
	v_dual_cndmask_b32 v0, v0, v4 :: v_dual_ashrrev_i32 v3, 31, v14
	v_add_nc_u32_e32 v4, 1, v2
	s_delay_alu instid0(VALU_DEP_2) | instskip(NEXT) | instid1(VALU_DEP_3)
	v_cmp_le_u32_e32 vcc_lo, s81, v0
	v_xor_b32_e32 v3, s0, v3
	v_readlane_b32 s0, v127, 17
	v_readlane_b32 s1, v127, 18
	v_cndmask_b32_e32 v0, v2, v4, vcc_lo
	s_delay_alu instid0(VALU_DEP_1) | instskip(NEXT) | instid1(VALU_DEP_1)
	v_xor_b32_e32 v0, v0, v3
	v_sub_nc_u32_e32 v4, v0, v3
	s_delay_alu instid0(VALU_DEP_1) | instskip(NEXT) | instid1(VALU_DEP_1)
	v_sub_nc_u32_e32 v0, 0, v4
	v_max_i32_e32 v0, v4, v0
	s_delay_alu instid0(VALU_DEP_1) | instskip(SKIP_1) | instid1(VALU_DEP_2)
	v_mul_u64_e32 v[2:3], s[0:1], v[0:1]
	v_readlane_b32 s0, v127, 13
	v_mul_lo_u32 v2, v3, s82
	s_delay_alu instid0(VALU_DEP_1) | instskip(NEXT) | instid1(VALU_DEP_1)
	v_dual_sub_nc_u32 v0, v0, v2 :: v_dual_add_nc_u32 v2, 1, v3
	v_subrev_nc_u32_e32 v5, s82, v0
	v_cmp_le_u32_e32 vcc_lo, s82, v0
	s_delay_alu instid0(VALU_DEP_3) | instskip(NEXT) | instid1(VALU_DEP_1)
	v_dual_cndmask_b32 v2, v3, v2 :: v_dual_ashrrev_i32 v3, 31, v4
	v_dual_cndmask_b32 v0, v0, v5 :: v_dual_add_nc_u32 v5, 1, v2
	s_delay_alu instid0(VALU_DEP_1) | instskip(NEXT) | instid1(VALU_DEP_3)
	v_cmp_le_u32_e32 vcc_lo, s82, v0
	v_xor_b32_e32 v3, s0, v3
	v_readlane_b32 s0, v127, 19
	v_readlane_b32 s1, v127, 20
	v_cndmask_b32_e32 v0, v2, v5, vcc_lo
	s_delay_alu instid0(VALU_DEP_1) | instskip(NEXT) | instid1(VALU_DEP_1)
	v_xor_b32_e32 v0, v0, v3
	v_sub_nc_u32_e32 v5, v0, v3
	s_delay_alu instid0(VALU_DEP_1) | instskip(NEXT) | instid1(VALU_DEP_1)
	v_sub_nc_u32_e32 v0, 0, v5
	v_max_i32_e32 v0, v5, v0
	s_delay_alu instid0(VALU_DEP_1) | instskip(SKIP_1) | instid1(VALU_DEP_2)
	v_mul_u64_e32 v[2:3], s[0:1], v[0:1]
	v_readlane_b32 s0, v127, 14
	v_mul_lo_u32 v2, v3, s83
	s_delay_alu instid0(VALU_DEP_1) | instskip(NEXT) | instid1(VALU_DEP_1)
	v_dual_sub_nc_u32 v0, v0, v2 :: v_dual_add_nc_u32 v2, 1, v3
	v_subrev_nc_u32_e32 v6, s83, v0
	v_cmp_le_u32_e32 vcc_lo, s83, v0
	s_delay_alu instid0(VALU_DEP_3) | instskip(NEXT) | instid1(VALU_DEP_1)
	v_dual_cndmask_b32 v2, v3, v2 :: v_dual_ashrrev_i32 v3, 31, v5
	v_dual_cndmask_b32 v0, v0, v6, vcc_lo :: v_dual_bitop2_b32 v3, s0, v3 bitop3:0x14
	s_delay_alu instid0(VALU_DEP_2) | instskip(NEXT) | instid1(VALU_DEP_2)
	v_add_nc_u32_e32 v6, 1, v2
	v_cmp_le_u32_e32 vcc_lo, s83, v0
	v_readlane_b32 s0, v127, 21
	v_readlane_b32 s1, v127, 22
	s_delay_alu instid0(VALU_DEP_4) | instskip(NEXT) | instid1(VALU_DEP_1)
	v_cndmask_b32_e32 v0, v2, v6, vcc_lo
	v_xor_b32_e32 v0, v0, v3
	s_delay_alu instid0(VALU_DEP_1) | instskip(NEXT) | instid1(VALU_DEP_1)
	v_sub_nc_u32_e32 v6, v0, v3
	v_sub_nc_u32_e32 v0, 0, v6
	s_delay_alu instid0(VALU_DEP_1) | instskip(NEXT) | instid1(VALU_DEP_1)
	v_max_i32_e32 v0, v6, v0
	v_mul_u64_e32 v[2:3], s[0:1], v[0:1]
	v_readlane_b32 s0, v127, 11
	s_delay_alu instid0(VALU_DEP_2) | instskip(NEXT) | instid1(VALU_DEP_1)
	v_mul_lo_u32 v2, v3, s31
	v_dual_sub_nc_u32 v0, v0, v2 :: v_dual_add_nc_u32 v2, 1, v3
	s_delay_alu instid0(VALU_DEP_1) | instskip(SKIP_1) | instid1(VALU_DEP_2)
	v_subrev_nc_u32_e32 v7, s31, v0
	v_cmp_le_u32_e32 vcc_lo, s31, v0
	v_dual_cndmask_b32 v2, v3, v2, vcc_lo :: v_dual_cndmask_b32 v0, v0, v7, vcc_lo
	v_ashrrev_i32_e32 v3, 31, v6
	s_delay_alu instid0(VALU_DEP_2) | instskip(NEXT) | instid1(VALU_DEP_3)
	v_add_nc_u32_e32 v7, 1, v2
	v_cmp_le_u32_e32 vcc_lo, s31, v0
	s_delay_alu instid0(VALU_DEP_3) | instskip(NEXT) | instid1(VALU_DEP_3)
	v_xor_b32_e32 v3, s55, v3
	v_cndmask_b32_e32 v0, v2, v7, vcc_lo
	v_mul_lo_u32 v2, v5, s39
	s_and_not1_b32 vcc_lo, exec_lo, s0
	s_delay_alu instid0(VALU_DEP_1) | instskip(NEXT) | instid1(VALU_DEP_3)
	v_sub_nc_u32_e32 v8, v4, v2
	v_xor_b32_e32 v0, v0, v3
	s_delay_alu instid0(VALU_DEP_1) | instskip(SKIP_2) | instid1(VALU_DEP_1)
	v_sub_nc_u32_e32 v19, v0, v3
	v_mul_lo_u32 v0, v4, s34
	v_mul_lo_u32 v3, v6, s38
	v_dual_sub_nc_u32 v61, v14, v0 :: v_dual_sub_nc_u32 v0, v5, v3
	s_delay_alu instid0(VALU_DEP_4) | instskip(NEXT) | instid1(VALU_DEP_1)
	v_mul_lo_u32 v7, v19, s37
	v_sub_nc_u32_e32 v20, v6, v7
	s_cbranch_vccnz .LBB13_61
; %bb.5:                                ;   in Loop: Header=BB13_4 Depth=1
	v_readlane_b32 s0, v127, 2
	s_clause 0x1
	scratch_store_b64 off, v[14:15], off offset:200
	scratch_store_b32 off, v0, off offset:212
	v_readlane_b32 s1, v127, 3
	s_clause 0x2
	scratch_store_b32 off, v8, off offset:208
	scratch_store_b32 off, v19, off offset:216
	;; [unrolled: 1-line block ×3, first 2 shown]
	v_add_nc_u32_e32 v3, s0, v8
	v_add_nc_u32_e32 v2, s47, v0
	s_mul_i32 s0, s61, s40
	v_mul_lo_u32 v126, v20, s40
	s_delay_alu instid0(VALU_DEP_3)
	v_dual_add_nc_u32 v16, s1, v61 :: v_dual_sub_nc_u32 v6, 0, v3
	s_wait_xcnt 0x3
	v_dual_sub_nc_u32 v0, 0, v2 :: v_dual_ashrrev_i32 v15, 31, v2
	v_mul_lo_u32 v14, s60, v19
	s_wait_xcnt 0x2
	v_dual_add_nc_u32 v17, -2, v3 :: v_dual_sub_nc_u32 v8, 0, v16
	s_delay_alu instid0(VALU_DEP_3) | instskip(SKIP_3) | instid1(VALU_DEP_3)
	v_max_i32_e32 v0, v2, v0
	v_dual_ashrrev_i32 v21, 31, v16 :: v_dual_bitop2_b32 v31, s90, v15 bitop3:0x14
	s_wait_xcnt 0x1
	v_dual_add_nc_u32 v19, -1, v16 :: v_dual_sub_nc_u32 v29, 1, v16
	v_mul_u64_e32 v[4:5], s[74:75], v[0:1]
	v_dual_add_nc_u32 v25, -2, v2 :: v_dual_sub_nc_u32 v26, 2, v2
	s_delay_alu instid0(VALU_DEP_3) | instskip(SKIP_4) | instid1(VALU_DEP_1)
	v_dual_ashrrev_i32 v37, 31, v19 :: v_dual_add_nc_u32 v27, -1, v2
	v_sub_nc_u32_e32 v28, 1, v2
	v_mov_b64_e32 v[12:13], 0
	s_mov_b32 s94, 0
	v_dual_ashrrev_i32 v35, 31, v25 :: v_dual_sub_nc_u32 v30, 2, v16
	v_xor_b32_e32 v35, s90, v35
	v_mul_lo_u32 v4, v5, s87
	s_delay_alu instid0(VALU_DEP_1) | instskip(SKIP_1) | instid1(VALU_DEP_2)
	v_dual_add_nc_u32 v23, 1, v5 :: v_dual_sub_nc_u32 v18, v0, v4
	v_max_i32_e32 v0, v3, v6
	v_subrev_nc_u32_e32 v40, s87, v18
	s_delay_alu instid0(VALU_DEP_2) | instskip(SKIP_1) | instid1(VALU_DEP_3)
	v_mul_u64_e32 v[6:7], s[76:77], v[0:1]
	v_cmp_le_u32_e32 vcc_lo, s87, v18
	v_dual_cndmask_b32 v5, v5, v23 :: v_dual_cndmask_b32 v18, v18, v40
	s_delay_alu instid0(VALU_DEP_1) | instskip(NEXT) | instid1(VALU_DEP_4)
	v_cmp_le_u32_e32 vcc_lo, s87, v18
	v_mul_lo_u32 v4, v7, s88
	s_delay_alu instid0(VALU_DEP_1) | instskip(SKIP_3) | instid1(VALU_DEP_3)
	v_dual_add_nc_u32 v40, 1, v7 :: v_dual_sub_nc_u32 v6, v0, v4
	v_dual_sub_nc_u32 v10, 2, v3 :: v_dual_max_i32 v0, v16, v8
	v_dual_add_nc_u32 v24, -1, v3 :: v_dual_sub_nc_u32 v22, 1, v3
	v_xor_b32_e32 v33, s92, v21
	v_mul_u64_e32 v[8:9], s[78:79], v[0:1]
	s_delay_alu instid0(VALU_DEP_3) | instskip(SKIP_1) | instid1(VALU_DEP_2)
	v_dual_ashrrev_i32 v21, 31, v17 :: v_dual_ashrrev_i32 v34, 31, v24
	v_add_nc_u32_e32 v60, s40, v126
	v_xor_b32_e32 v34, s91, v34
	s_delay_alu instid0(VALU_DEP_4) | instskip(NEXT) | instid1(VALU_DEP_1)
	v_mul_lo_u32 v4, v9, s89
	v_dual_sub_nc_u32 v8, v0, v4 :: v_dual_max_i32 v0, v17, v10
	v_mul_lo_u32 v4, s0, v20
	s_wait_xcnt 0x0
	v_ashrrev_i32_e32 v20, 31, v3
	v_readlane_b32 s0, v127, 4
	v_mul_u64_e32 v[10:11], s[76:77], v[0:1]
	v_add_nc_u32_e32 v10, -2, v16
	s_delay_alu instid0(VALU_DEP_4) | instskip(NEXT) | instid1(VALU_DEP_4)
	v_dual_ashrrev_i32 v36, 31, v27 :: v_dual_bitop2_b32 v32, s91, v20 bitop3:0x14
	v_mul_lo_u32 v20, s0, v126
	v_readlane_b32 s0, v127, 5
	s_delay_alu instid0(VALU_DEP_4) | instskip(SKIP_2) | instid1(VALU_DEP_3)
	v_ashrrev_i32_e32 v38, 31, v10
	v_readlane_b32 s1, v127, 6
	v_xor_b32_e32 v36, s90, v36
	v_xor_b32_e32 v18, s92, v38
	v_mul_lo_u32 v15, v11, s88
	s_delay_alu instid0(VALU_DEP_1) | instskip(SKIP_1) | instid1(VALU_DEP_1)
	v_dual_sub_nc_u32 v39, v0, v15 :: v_dual_ashrrev_i32 v15, 31, v14
	v_max_i32_e32 v0, v24, v22
	v_mul_u64_e32 v[22:23], s[76:77], v[0:1]
	v_xor_b32_e32 v22, s91, v21
	v_add_nc_u32_e32 v21, 1, v5
	s_delay_alu instid0(VALU_DEP_1) | instskip(SKIP_2) | instid1(VALU_DEP_3)
	v_cndmask_b32_e32 v5, v5, v21, vcc_lo
	v_subrev_nc_u32_e32 v21, s88, v6
	v_cmp_le_u32_e32 vcc_lo, s88, v6
	v_dual_cndmask_b32 v7, v7, v40, vcc_lo :: v_dual_bitop2_b32 v5, v5, v31 bitop3:0x14
	s_delay_alu instid0(VALU_DEP_3) | instskip(SKIP_1) | instid1(VALU_DEP_3)
	v_cndmask_b32_e32 v6, v6, v21, vcc_lo
	v_dual_ashrrev_i32 v21, 31, v20 :: v_dual_bitop2_b32 v37, s92, v37 bitop3:0x14
	v_add_nc_u32_e32 v38, 1, v7
	s_delay_alu instid0(VALU_DEP_4) | instskip(NEXT) | instid1(VALU_DEP_4)
	v_dual_sub_nc_u32 v5, v5, v31 :: v_dual_add_nc_u32 v31, 1, v9
	v_cmp_le_u32_e32 vcc_lo, s88, v6
	s_delay_alu instid0(VALU_DEP_2)
	v_mul_lo_u32 v40, v5, s42
	v_cmp_gt_i32_e64 s26, s41, v5
	v_cndmask_b32_e32 v6, v7, v38, vcc_lo
	v_subrev_nc_u32_e32 v7, s89, v8
	v_cmp_le_u32_e32 vcc_lo, s89, v8
	v_mul_lo_u32 v38, v5, s44
	v_mul_lo_u32 v44, v23, s88
	v_dual_cndmask_b32 v31, v9, v31, vcc_lo :: v_dual_bitop2_b32 v41, v6, v32 bitop3:0x14
	v_cndmask_b32_e32 v42, v8, v7, vcc_lo
	v_lshl_add_u64 v[6:7], v[14:15], 3, s[0:1]
	v_readlane_b32 s0, v127, 9
	s_delay_alu instid0(VALU_DEP_4) | instskip(NEXT) | instid1(VALU_DEP_4)
	v_dual_add_nc_u32 v43, 1, v31 :: v_dual_sub_nc_u32 v14, v41, v32
	v_cmp_le_u32_e32 vcc_lo, s89, v42
	v_readlane_b32 s1, v127, 10
	v_dual_sub_nc_u32 v32, v0, v44 :: v_dual_max_i32 v0, v25, v26
	v_add_nc_u32_e32 v26, 1, v11
	v_cndmask_b32_e32 v15, v31, v43, vcc_lo
	s_delay_alu instid0(VALU_DEP_4)
	v_lshl_add_u64 v[8:9], v[20:21], 3, s[0:1]
	v_cmp_eq_u32_e64 s1, v38, v2
	v_add_nc_u32_e32 v2, v14, v40
	v_mul_u64_e32 v[20:21], s[74:75], v[0:1]
	v_xor_b32_e32 v15, v15, v33
	v_mul_lo_u32 v31, v14, s45
	v_cmp_le_u32_e32 vcc_lo, s88, v39
	v_mul_lo_u32 v2, v2, s43
	v_subrev_nc_u32_e32 v20, s88, v39
	v_cmp_le_u32_e64 s0, s88, v32
	v_cmp_gt_i32_e64 s17, s42, v14
	v_cndmask_b32_e32 v11, v11, v26, vcc_lo
	v_sub_nc_u32_e32 v15, v15, v33
	v_cmp_eq_u32_e64 s5, v31, v3
	s_delay_alu instid0(VALU_DEP_3) | instskip(NEXT) | instid1(VALU_DEP_3)
	v_add_nc_u32_e32 v31, 1, v11
	v_mul_lo_u32 v26, v15, s46
	v_add_nc_u32_e32 v38, v15, v2
	v_cndmask_b32_e32 v20, v39, v20, vcc_lo
	v_cmp_gt_i32_e64 s2, s43, v15
	s_and_b32 s33, s1, s5
	v_ashrrev_i32_e32 v39, 31, v38
	v_cmp_le_u32_e32 vcc_lo, s88, v20
	v_subrev_nc_u32_e32 v20, s88, v32
	v_or_b32_e32 v3, v15, v14
	s_and_b32 s12, s2, s17
	v_cmp_eq_u32_e64 s7, v26, v16
	v_add_nc_u32_e32 v16, 1, v23
	v_dual_cndmask_b32 v11, v11, v31, vcc_lo :: v_dual_cndmask_b32 v20, v32, v20, s0
	v_mul_lo_u32 v31, v21, s87
	s_delay_alu instid0(VALU_DEP_2) | instskip(NEXT) | instid1(VALU_DEP_4)
	v_xor_b32_e32 v11, v11, v22
	v_cndmask_b32_e64 v16, v23, v16, s0
	s_delay_alu instid0(VALU_DEP_4) | instskip(NEXT) | instid1(VALU_DEP_2)
	v_cmp_le_u32_e64 s0, s88, v20
	v_dual_add_nc_u32 v26, 1, v16 :: v_dual_bitop2_b32 v33, v3, v5 bitop3:0x54
	s_delay_alu instid0(VALU_DEP_1) | instskip(SKIP_2) | instid1(VALU_DEP_4)
	v_cmp_lt_i32_e32 vcc_lo, -1, v33
	v_dual_sub_nc_u32 v20, v0, v31 :: v_dual_sub_nc_u32 v11, v11, v22
	v_dual_add_nc_u32 v28, 1, v21 :: v_dual_max_i32 v0, v27, v28
	v_cndmask_b32_e64 v16, v16, v26, s0
	s_and_b32 s3, s12, vcc_lo
	s_delay_alu instid0(VALU_DEP_3)
	v_or_b32_e32 v22, v15, v11
	v_cmp_gt_i32_e64 s18, s42, v11
	v_mul_lo_u32 v23, v11, s45
	v_add_nc_u32_e32 v32, v11, v40
	s_and_b32 s95, s3, s26
	v_or_b32_e32 v33, v22, v5
	s_and_b32 s13, s2, s18
	s_and_b32 vcc_lo, s33, s7
	v_mul_lo_u32 v26, v32, s43
	s_delay_alu instid0(VALU_DEP_2)
	v_cmp_lt_i32_e64 s0, -1, v33
	v_cmp_eq_u32_e64 s6, v23, v17
	s_and_b32 s3, s13, s0
	v_cmp_le_u32_e64 s0, s87, v20
	v_xor_b32_e32 v16, v16, v34
	s_and_b32 s96, s3, s26
	s_and_b32 s80, s1, s6
	s_delay_alu instid0(VALU_DEP_1) | instskip(SKIP_2) | instid1(VALU_DEP_3)
	v_dual_cndmask_b32 v21, v21, v28, s0 :: v_dual_sub_nc_u32 v23, v16, v34
	v_mul_u64_e32 v[16:17], s[74:75], v[0:1]
	v_subrev_nc_u32_e32 v16, s87, v20
	v_add_nc_u32_e32 v32, v23, v40
	v_mul_lo_u32 v31, v23, s45
	s_delay_alu instid0(VALU_DEP_3) | instskip(SKIP_1) | instid1(VALU_DEP_4)
	v_dual_cndmask_b32 v16, v20, v16, s0 :: v_dual_add_nc_u32 v20, 1, v21
	v_cmp_gt_i32_e64 s19, s42, v23
	v_mul_lo_u32 v32, v32, s43
	v_or_b32_e32 v28, v15, v23
	s_delay_alu instid0(VALU_DEP_4)
	v_cmp_le_u32_e64 s0, s87, v16
	s_and_b32 s14, s2, s19
	v_dual_cndmask_b32 v16, v21, v20, s0 :: v_dual_bitop2_b32 v33, v28, v5 bitop3:0x54
	v_cmp_eq_u32_e64 s8, v31, v24
	s_and_b32 s0, s80, s7
	v_add_nc_u32_e32 v20, v15, v32
	v_cmp_lt_i32_e64 s3, -1, v33
	s_and_b32 s84, s1, s8
	s_delay_alu instid0(SALU_CYCLE_1) | instskip(SKIP_2) | instid1(SALU_CYCLE_1)
	s_and_b32 s1, s84, s7
	v_dual_ashrrev_i32 v21, 31, v20 :: v_dual_bitop2_b32 v16, v16, v35 bitop3:0x14
	s_and_b32 s2, s14, s3
	s_and_b32 s97, s2, s26
	s_delay_alu instid0(VALU_DEP_1)
	v_sub_nc_u32_e32 v24, v16, v35
	scratch_store_b64 off, v[38:39], off    ; 8-byte Folded Spill
	s_wait_xcnt 0x0
	v_add_nc_u32_e32 v38, v15, v26
	v_mul_lo_u32 v31, v17, s87
	v_mul_lo_u32 v33, v24, s44
	;; [unrolled: 1-line block ×3, first 2 shown]
	s_delay_alu instid0(VALU_DEP_4) | instskip(SKIP_2) | instid1(VALU_DEP_3)
	v_dual_ashrrev_i32 v39, 31, v38 :: v_dual_bitop2_b32 v16, v3, v24 bitop3:0x54
	v_cmp_gt_i32_e64 s27, s41, v24
	v_sub_nc_u32_e32 v31, v0, v31
	v_cmp_lt_i32_e64 s2, -1, v16
	v_max_i32_e32 v0, v19, v29
	v_dual_add_nc_u32 v29, v23, v34 :: v_dual_add_nc_u32 v16, 1, v17
	s_and_b32 s9, s12, s2
	v_cmp_eq_u32_e64 s2, v33, v25
	v_add_nc_u32_e32 v25, v14, v34
	s_delay_alu instid0(VALU_DEP_3)
	v_mul_lo_u32 v29, v29, s43
	v_add_nc_u32_e32 v33, v11, v34
	s_and_b32 s98, s9, s27
	s_and_b32 s85, s2, s5
	v_mul_lo_u32 v25, v25, s43
	s_and_b32 s86, s2, s8
	s_and_b32 s66, s2, s6
	;; [unrolled: 1-line block ×3, first 2 shown]
	s_delay_alu instid0(VALU_DEP_1) | instskip(NEXT) | instid1(VALU_DEP_1)
	v_add_nc_u32_e32 v34, v15, v25
	v_ashrrev_i32_e32 v35, 31, v34
	scratch_store_b64 off, v[38:39], off offset:8 ; 8-byte Folded Spill
	s_wait_xcnt 0x0
	v_add_nc_u32_e32 v38, v15, v29
	s_delay_alu instid0(VALU_DEP_1) | instskip(SKIP_4) | instid1(VALU_DEP_2)
	v_ashrrev_i32_e32 v39, 31, v38
	scratch_store_b64 off, v[20:21], off offset:16 ; 8-byte Folded Spill
	s_wait_xcnt 0x0
	v_or_b32_e32 v20, v28, v24
	v_or_b32_e32 v21, v22, v24
	v_cmp_lt_i32_e64 s3, -1, v20
	s_delay_alu instid0(VALU_DEP_2) | instskip(SKIP_4) | instid1(SALU_CYCLE_1)
	v_cmp_lt_i32_e64 s4, -1, v21
	s_and_b32 s10, s14, s3
	v_cmp_le_u32_e64 s3, s87, v31
	s_and_b32 s99, s10, s27
	s_and_b32 s4, s13, s4
	;; [unrolled: 1-line block ×3, first 2 shown]
	v_cndmask_b32_e64 v16, v17, v16, s3
	v_mul_u64_e32 v[20:21], s[78:79], v[0:1]
	v_subrev_nc_u32_e32 v20, s87, v31
	s_and_b32 s4, s66, s7
	s_delay_alu instid0(VALU_DEP_1) | instskip(SKIP_1) | instid1(VALU_DEP_2)
	v_cndmask_b32_e64 v17, v31, v20, s3
	v_add_nc_u32_e32 v20, 1, v16
	v_cmp_le_u32_e64 s3, s87, v17
	s_delay_alu instid0(VALU_DEP_1) | instskip(SKIP_2) | instid1(VALU_DEP_2)
	v_cndmask_b32_e64 v16, v16, v20, s3
	v_mul_lo_u32 v31, v33, s43
	s_and_b32 s3, s86, s7
	v_xor_b32_e32 v16, v16, v36
	s_delay_alu instid0(VALU_DEP_1) | instskip(NEXT) | instid1(VALU_DEP_1)
	v_dual_sub_nc_u32 v20, v16, v36 :: v_dual_add_nc_u32 v40, v15, v31
	v_or_b32_e32 v16, v28, v20
	v_mul_lo_u32 v28, v20, s42
	v_mul_lo_u32 v33, v21, s89
	v_or_b32_e32 v17, v22, v20
	v_mul_lo_u32 v22, v20, s44
	v_or_b32_e32 v3, v3, v20
	v_cmp_lt_i32_e64 s10, -1, v16
	v_cmp_gt_i32_e64 s28, s41, v20
	v_cmp_lt_i32_e64 s11, -1, v17
	v_ashrrev_i32_e32 v41, 31, v40
	v_cmp_lt_i32_e64 s9, -1, v3
	s_and_b32 s10, s14, s10
	v_dual_add_nc_u32 v16, v14, v28 :: v_dual_sub_nc_u32 v0, v0, v33
	v_add_nc_u32_e32 v3, 1, v21
	s_and_b32 s12, s12, s9
	v_cmp_eq_u32_e64 s9, v22, v27
	s_and_b32 s102, s10, s28
	v_subrev_nc_u32_e32 v27, s89, v0
	v_cmp_le_u32_e64 s10, s89, v0
	v_add_nc_u32_e32 v17, v23, v28
	v_add_nc_u32_e32 v22, v11, v28
	s_and_b32 s67, s9, s5
	scratch_store_b64 off, v[34:35], off offset:24 ; 8-byte Folded Spill
	v_cndmask_b32_e64 v3, v21, v3, s10
	v_mul_lo_u32 v21, v16, s43
	v_cndmask_b32_e64 v0, v0, v27, s10
	v_mul_lo_u32 v27, v17, s43
	v_mul_lo_u32 v22, v22, s43
	v_add_nc_u32_e32 v16, 1, v3
	s_and_b32 s68, s9, s8
	v_cmp_le_u32_e64 s5, s89, v0
	v_max_i32_e32 v0, v10, v30
	s_and_b32 s69, s9, s6
	s_and_b32 s11, s13, s11
	s_and_b32 s101, s12, s28
	s_wait_xcnt 0x0
	v_add_nc_u32_e32 v34, v15, v21
	s_and_b32 s103, s11, s28
	v_add_nc_u32_e32 v36, v15, v27
	v_cndmask_b32_e64 v3, v3, v16, s5
	v_mul_u64_e32 v[16:17], s[78:79], v[0:1]
	v_ashrrev_i32_e32 v35, 31, v34
	scratch_store_b64 off, v[38:39], off offset:32 ; 8-byte Folded Spill
	s_and_b32 s5, s67, s7
	v_xor_b32_e32 v3, v3, v37
	s_and_b32 s6, s68, s7
	scratch_store_b64 off, v[34:35], off offset:48 ; 8-byte Folded Spill
	s_and_b32 s7, s69, s7
	v_dual_sub_nc_u32 v3, v3, v37 :: v_dual_ashrrev_i32 v37, 31, v36
	scratch_store_b64 off, v[40:41], off offset:40 ; 8-byte Folded Spill
	v_or_b32_e32 v28, v3, v14
	s_wait_xcnt 0x2
	v_add_nc_u32_e32 v38, v15, v22
	scratch_store_b64 off, v[36:37], off offset:56 ; 8-byte Folded Spill
	v_dual_ashrrev_i32 v39, 31, v38 :: v_dual_bitop2_b32 v33, v28, v5 bitop3:0x54
	s_wait_xcnt 0x1
	v_dual_add_nc_u32 v40, v3, v32 :: v_dual_bitop2_b32 v16, v3, v23 bitop3:0x54
	v_dual_add_nc_u32 v48, v3, v22 :: v_dual_bitop2_b32 v15, v3, v11 bitop3:0x54
	v_dual_add_nc_u32 v42, v3, v26 :: v_dual_add_nc_u32 v46, v3, v27
	s_delay_alu instid0(VALU_DEP_3)
	v_or_b32_e32 v34, v16, v5
	s_wait_xcnt 0x0
	v_dual_add_nc_u32 v44, v3, v21 :: v_dual_bitop2_b32 v36, v28, v24 bitop3:0x54
	v_dual_add_nc_u32 v50, v3, v25 :: v_dual_ashrrev_i32 v41, 31, v40
	scratch_store_b64 off, v[38:39], off offset:64 ; 8-byte Folded Spill
	s_wait_xcnt 0x0
	v_add_nc_u32_e32 v38, v3, v2
	v_cmp_lt_i32_e64 s10, -1, v34
	v_dual_ashrrev_i32 v43, 31, v42 :: v_dual_bitop2_b32 v34, v15, v20 bitop3:0x54
	v_cmp_gt_i32_e64 s8, s43, v3
	v_mul_lo_u32 v30, v3, s46
	v_or_b32_e32 v28, v28, v20
	v_cmp_lt_i32_e64 s9, -1, v33
	v_or_b32_e32 v33, v16, v20
	v_cmp_lt_i32_e64 s14, -1, v34
	v_add_nc_u32_e32 v34, v3, v29
	v_cmp_lt_i32_e64 s15, -1, v36
	v_dual_add_nc_u32 v36, v3, v31 :: v_dual_bitop2_b32 v3, v16, v24 bitop3:0x54
	v_ashrrev_i32_e32 v47, 31, v46
	s_and_b32 s21, s8, s17
	s_and_b32 s22, s8, s19
	;; [unrolled: 1-line block ×3, first 2 shown]
	v_cmp_lt_i32_e64 s8, -1, v3
	v_mul_lo_u32 v3, v17, s89
	v_dual_ashrrev_i32 v39, 31, v38 :: v_dual_bitop2_b32 v35, v15, v5 bitop3:0x54
	v_dual_ashrrev_i32 v51, 31, v50 :: v_dual_bitop2_b32 v15, v15, v24 bitop3:0x54
	v_ashrrev_i32_e32 v49, 31, v48
	s_delay_alu instid0(VALU_DEP_3) | instskip(SKIP_1) | instid1(VALU_DEP_4)
	v_cmp_lt_i32_e64 s11, -1, v35
	v_ashrrev_i32_e32 v45, 31, v44
	v_cmp_lt_i32_e64 s16, -1, v15
	v_add_nc_u32_e32 v15, 1, v17
	s_and_b32 s62, s23, s14
	v_sub_nc_u32_e32 v0, v0, v3
	s_and_b32 s29, s23, s11
	v_cmp_lt_i32_e64 s12, -1, v28
	v_cmp_lt_i32_e64 s13, -1, v33
	v_cmp_eq_u32_e64 s20, v30, v19
	v_subrev_nc_u32_e32 v3, s89, v0
	v_cmp_le_u32_e64 s11, s89, v0
	v_dual_ashrrev_i32 v37, 31, v36 :: v_dual_ashrrev_i32 v35, 31, v34
	s_and_b32 s24, s21, s9
	s_and_b32 s25, s22, s10
	v_cndmask_b32_e64 v15, v17, v15, s11
	v_cndmask_b32_e64 v0, v0, v3, s11
	s_and_b32 s30, s21, s12
	s_and_b32 s59, s22, s13
	s_and_b32 s21, s21, s15
	v_add_nc_u32_e32 v3, 1, v15
	v_cmp_le_u32_e64 s14, s89, v0
	s_and_b32 s22, s22, s8
	s_and_b32 s23, s23, s16
	;; [unrolled: 1-line block ×4, first 2 shown]
	v_cndmask_b32_e64 v0, v15, v3, s14
	s_and_b32 s10, s80, s20
	s_and_b32 s11, s67, s20
	;; [unrolled: 1-line block ×4, first 2 shown]
	v_xor_b32_e32 v0, v0, v18
	s_and_b32 s14, s85, s20
	s_and_b32 s15, s86, s20
	;; [unrolled: 1-line block ×3, first 2 shown]
	scratch_store_b64 off, v[34:35], off offset:128 ; 8-byte Folded Spill
	v_sub_nc_u32_e32 v0, v0, v18
	s_and_b32 s104, s24, s26
	s_and_b32 vcc_hi, s25, s26
	s_and_b32 s36, s29, s26
	s_and_b32 s64, s62, s28
	v_or_b32_e32 v3, v0, v14
	s_and_b32 s65, s21, s27
	s_and_b32 s62, s22, s27
	;; [unrolled: 1-line block ×4, first 2 shown]
	v_or_b32_e32 v16, v3, v20
	v_dual_add_nc_u32 v28, v0, v2 :: v_dual_bitop2_b32 v11, v0, v11 bitop3:0x54
	v_dual_add_nc_u32 v26, v0, v26 :: v_dual_bitop2_b32 v14, v0, v23 bitop3:0x54
	v_mul_lo_u32 v15, v0, s46
	v_cmp_gt_i32_e64 s20, s43, v0
	v_or_b32_e32 v2, v3, v24
	s_delay_alu instid0(VALU_DEP_4)
	v_or_b32_e32 v17, v14, v24
	v_dual_add_nc_u32 v30, v0, v21 :: v_dual_bitop2_b32 v18, v14, v20 bitop3:0x54
	v_dual_add_nc_u32 v22, v0, v22 :: v_dual_bitop2_b32 v14, v14, v5 bitop3:0x54
	s_wait_xcnt 0x0
	v_dual_add_nc_u32 v34, v0, v25 :: v_dual_bitop2_b32 v19, v11, v24 bitop3:0x54
	v_dual_add_nc_u32 v62, v0, v29 :: v_dual_bitop2_b32 v20, v11, v20 bitop3:0x54
	;; [unrolled: 1-line block ×4, first 2 shown]
	v_add_nc_u32_e32 v64, v0, v31
	v_cmp_lt_i32_e64 s22, -1, v14
	s_delay_alu instid0(VALU_DEP_4)
	v_cmp_lt_i32_e64 s21, -1, v3
	v_cmp_lt_i32_e64 s24, -1, v16
	;; [unrolled: 1-line block ×5, first 2 shown]
	s_and_b32 s70, s20, s17
	s_and_b32 s71, s20, s19
	;; [unrolled: 1-line block ×3, first 2 shown]
	v_cmp_lt_i32_e64 s17, -1, v2
	v_cmp_lt_i32_e64 s18, -1, v17
	;; [unrolled: 1-line block ×3, first 2 shown]
	v_cmp_eq_u32_e64 s30, v15, v10
	v_dual_ashrrev_i32 v29, 31, v28 :: v_dual_ashrrev_i32 v27, 31, v26
	v_dual_ashrrev_i32 v25, 31, v24 :: v_dual_ashrrev_i32 v31, 31, v30
	;; [unrolled: 1-line block ×4, first 2 shown]
	v_ashrrev_i32_e32 v63, 31, v62
	s_and_b32 s72, s70, s21
	s_and_b32 s73, s71, s22
	;; [unrolled: 1-line block ×28, first 2 shown]
	s_clause 0xe
	scratch_store_b64 off, v[38:39], off offset:72
	scratch_store_b64 off, v[42:43], off offset:88
	;; [unrolled: 1-line block ×15, first 2 shown]
	s_branch .LBB13_7
.LBB13_6:                               ;   in Loop: Header=BB13_7 Depth=2
	s_wait_xcnt 0x0
	s_or_b32 exec_lo, exec_lo, s26
	s_wait_loadcnt 0x1a
	v_dual_fma_f64 v[66:67], v[66:67], v[68:69], v[12:13] :: v_dual_add_nc_u32 v126, 1, v126
	v_add_nc_u64_e32 v[8:9], 0xd8, v[8:9]
	v_add_nc_u32_e32 v4, s61, v4
	s_delay_alu instid0(VALU_DEP_3) | instskip(SKIP_2) | instid1(VALU_DEP_1)
	v_cmp_ge_i32_e64 s26, v126, v60
	s_or_b32 s94, s26, s94
	v_dual_cndmask_b32 v13, v13, v67 :: v_dual_cndmask_b32 v12, v12, v66
	v_mov_b64_e32 v[66:67], v[12:13]
	s_wait_loadcnt 0x19
	s_delay_alu instid0(VALU_DEP_1) | instskip(NEXT) | instid1(VALU_DEP_1)
	v_fmac_f64_e32 v[66:67], v[74:75], v[76:77]
	v_dual_cndmask_b32 v13, v13, v67, s8 :: v_dual_cndmask_b32 v12, v12, v66, s8
	s_delay_alu instid0(VALU_DEP_1) | instskip(SKIP_1) | instid1(VALU_DEP_1)
	v_mov_b64_e32 v[66:67], v[12:13]
	s_wait_loadcnt 0x18
	v_fmac_f64_e32 v[66:67], v[78:79], v[70:71]
	s_delay_alu instid0(VALU_DEP_1) | instskip(NEXT) | instid1(VALU_DEP_1)
	v_dual_cndmask_b32 v13, v13, v67, s17 :: v_dual_cndmask_b32 v12, v12, v66, s17
	v_mov_b64_e32 v[66:67], v[12:13]
	s_wait_loadcnt 0x17
	s_delay_alu instid0(VALU_DEP_1) | instskip(NEXT) | instid1(VALU_DEP_1)
	v_fmac_f64_e32 v[66:67], v[82:83], v[84:85]
	v_dual_cndmask_b32 v13, v13, v67, s1 :: v_dual_cndmask_b32 v12, v12, v66, s1
	s_delay_alu instid0(VALU_DEP_1) | instskip(SKIP_1) | instid1(VALU_DEP_1)
	v_mov_b64_e32 v[66:67], v[12:13]
	s_wait_loadcnt 0x16
	v_fmac_f64_e32 v[66:67], v[86:87], v[80:81]
	s_delay_alu instid0(VALU_DEP_1) | instskip(NEXT) | instid1(VALU_DEP_1)
	v_dual_cndmask_b32 v13, v13, v67, s9 :: v_dual_cndmask_b32 v12, v12, v66, s9
	;; [unrolled: 11-line block ×12, first 2 shown]
	v_mov_b64_e32 v[10:11], v[2:3]
	s_wait_loadcnt 0x1
	s_delay_alu instid0(VALU_DEP_1) | instskip(NEXT) | instid1(VALU_DEP_1)
	v_fmac_f64_e32 v[10:11], v[54:55], v[56:57]
	v_dual_cndmask_b32 v3, v3, v11, s16 :: v_dual_cndmask_b32 v2, v2, v10, s16
	s_delay_alu instid0(VALU_DEP_1) | instskip(SKIP_1) | instid1(VALU_DEP_1)
	v_mov_b64_e32 v[10:11], v[2:3]
	s_wait_loadcnt 0x0
	v_fmac_f64_e32 v[10:11], v[58:59], v[52:53]
	s_delay_alu instid0(VALU_DEP_1)
	v_dual_cndmask_b32 v13, v3, v11, s25 :: v_dual_cndmask_b32 v12, v2, v10, s25
	s_and_not1_b32 exec_lo, exec_lo, s94
	s_cbranch_execz .LBB13_2
.LBB13_7:                               ;   Parent Loop BB13_4 Depth=1
                                        ; =>  This Inner Loop Header: Depth=2
	global_load_b64 v[66:67], v[8:9], off
	v_ashrrev_i32_e32 v5, 31, v4
	v_mov_b64_e32 v[68:69], 0
	s_delay_alu instid0(VALU_DEP_2)
	v_lshl_add_u64 v[72:73], v[4:5], 3, v[6:7]
	s_wait_xcnt 0x0
	s_and_saveexec_b32 s26, s95
	s_cbranch_execz .LBB13_9
; %bb.8:                                ;   in Loop: Header=BB13_7 Depth=2
	scratch_load_b64 v[2:3], off, off       ; 8-byte Folded Reload
	s_wait_loadcnt 0x0
	v_lshl_add_u64 v[2:3], v[2:3], 3, v[72:73]
	global_load_b64 v[68:69], v[2:3], off
.LBB13_9:                               ;   in Loop: Header=BB13_7 Depth=2
	s_wait_xcnt 0x0
	s_or_b32 exec_lo, exec_lo, s26
	global_load_b64 v[74:75], v[8:9], off offset:8
	v_mov_b64_e32 v[70:71], 0
	v_mov_b64_e32 v[76:77], 0
	s_wait_xcnt 0x0
	s_and_saveexec_b32 s26, s104
	s_cbranch_execz .LBB13_11
; %bb.10:                               ;   in Loop: Header=BB13_7 Depth=2
	scratch_load_b64 v[2:3], off, off offset:72 ; 8-byte Folded Reload
	s_wait_loadcnt 0x0
	v_lshl_add_u64 v[2:3], v[2:3], 3, v[72:73]
	global_load_b64 v[76:77], v[2:3], off
.LBB13_11:                              ;   in Loop: Header=BB13_7 Depth=2
	s_wait_xcnt 0x0
	s_or_b32 exec_lo, exec_lo, s26
	global_load_b64 v[78:79], v[8:9], off offset:16
	s_wait_xcnt 0x0
	s_and_saveexec_b32 s26, s29
	s_cbranch_execz .LBB13_13
; %bb.12:                               ;   in Loop: Header=BB13_7 Depth=2
	scratch_load_b64 v[2:3], off, off offset:144 ; 8-byte Folded Reload
	s_wait_loadcnt 0x0
	v_lshl_add_u64 v[2:3], v[2:3], 3, v[72:73]
	global_load_b64 v[70:71], v[2:3], off
.LBB13_13:                              ;   in Loop: Header=BB13_7 Depth=2
	s_wait_xcnt 0x0
	s_or_b32 exec_lo, exec_lo, s26
	global_load_b64 v[82:83], v[8:9], off offset:24
	v_mov_b64_e32 v[80:81], 0
	v_mov_b64_e32 v[84:85], 0
	s_wait_xcnt 0x0
	s_and_saveexec_b32 s26, s97
	s_cbranch_execz .LBB13_15
; %bb.14:                               ;   in Loop: Header=BB13_7 Depth=2
	scratch_load_b64 v[2:3], off, off offset:16 ; 8-byte Folded Reload
	s_wait_loadcnt 0x0
	v_lshl_add_u64 v[2:3], v[2:3], 3, v[72:73]
	global_load_b64 v[84:85], v[2:3], off
.LBB13_15:                              ;   in Loop: Header=BB13_7 Depth=2
	s_wait_xcnt 0x0
	s_or_b32 exec_lo, exec_lo, s26
	global_load_b64 v[86:87], v[8:9], off offset:32
	s_wait_xcnt 0x0
	s_and_saveexec_b32 s26, vcc_hi
	s_cbranch_execz .LBB13_17
; %bb.16:                               ;   in Loop: Header=BB13_7 Depth=2
	scratch_load_b64 v[2:3], off, off offset:80 ; 8-byte Folded Reload
	s_wait_loadcnt 0x0
	v_lshl_add_u64 v[2:3], v[2:3], 3, v[72:73]
	global_load_b64 v[80:81], v[2:3], off
.LBB13_17:                              ;   in Loop: Header=BB13_7 Depth=2
	s_wait_xcnt 0x0
	s_or_b32 exec_lo, exec_lo, s26
	global_load_b64 v[90:91], v[8:9], off offset:40
	v_mov_b64_e32 v[88:89], 0
	v_mov_b64_e32 v[92:93], 0
	s_wait_xcnt 0x0
	s_and_saveexec_b32 s26, s30
	s_cbranch_execz .LBB13_19
; %bb.18:                               ;   in Loop: Header=BB13_7 Depth=2
	scratch_load_b64 v[2:3], off, off offset:152 ; 8-byte Folded Reload
	s_wait_loadcnt 0x0
	v_lshl_add_u64 v[2:3], v[2:3], 3, v[72:73]
	global_load_b64 v[92:93], v[2:3], off
.LBB13_19:                              ;   in Loop: Header=BB13_7 Depth=2
	s_wait_xcnt 0x0
	s_or_b32 exec_lo, exec_lo, s26
	global_load_b64 v[94:95], v[8:9], off offset:48
	s_wait_xcnt 0x0
	s_and_saveexec_b32 s26, s96
	s_cbranch_execz .LBB13_21
; %bb.20:                               ;   in Loop: Header=BB13_7 Depth=2
	scratch_load_b64 v[2:3], off, off offset:8 ; 8-byte Folded Reload
	s_wait_loadcnt 0x0
	v_lshl_add_u64 v[2:3], v[2:3], 3, v[72:73]
	global_load_b64 v[88:89], v[2:3], off
.LBB13_21:                              ;   in Loop: Header=BB13_7 Depth=2
	s_wait_xcnt 0x0
	s_or_b32 exec_lo, exec_lo, s26
	global_load_b64 v[98:99], v[8:9], off offset:56
	v_mov_b64_e32 v[96:97], 0
	v_mov_b64_e32 v[100:101], 0
	s_wait_xcnt 0x0
	s_and_saveexec_b32 s26, s36
	s_cbranch_execz .LBB13_23
; %bb.22:                               ;   in Loop: Header=BB13_7 Depth=2
	scratch_load_b64 v[2:3], off, off offset:88 ; 8-byte Folded Reload
	s_wait_loadcnt 0x0
	v_lshl_add_u64 v[2:3], v[2:3], 3, v[72:73]
	global_load_b64 v[100:101], v[2:3], off
.LBB13_23:                              ;   in Loop: Header=BB13_7 Depth=2
	s_wait_xcnt 0x0
	s_or_b32 exec_lo, exec_lo, s26
	global_load_b64 v[102:103], v[8:9], off offset:64
	s_wait_xcnt 0x0
	s_and_saveexec_b32 s26, s80
	;; [unrolled: 26-line block ×9, first 2 shown]
	s_cbranch_execz .LBB13_53
; %bb.52:                               ;   in Loop: Header=BB13_7 Depth=2
	scratch_load_b64 v[36:37], off, off offset:128 ; 8-byte Folded Reload
	s_wait_loadcnt 0x0
	v_lshl_add_u64 v[36:37], v[36:37], 3, v[72:73]
	global_load_b64 v[36:37], v[36:37], off
.LBB13_53:                              ;   in Loop: Header=BB13_7 Depth=2
	s_wait_xcnt 0x0
	s_or_b32 exec_lo, exec_lo, s26
	global_load_b64 v[46:47], v[8:9], off offset:184
	v_mov_b64_e32 v[44:45], 0
	v_mov_b64_e32 v[48:49], 0
	s_wait_xcnt 0x0
	s_and_saveexec_b32 s26, s86
	s_cbranch_execz .LBB13_55
; %bb.54:                               ;   in Loop: Header=BB13_7 Depth=2
	v_lshl_add_u64 v[48:49], v[62:63], 3, v[72:73]
	global_load_b64 v[48:49], v[48:49], off
.LBB13_55:                              ;   in Loop: Header=BB13_7 Depth=2
	s_wait_xcnt 0x0
	s_or_b32 exec_lo, exec_lo, s26
	global_load_b64 v[50:51], v[8:9], off offset:192
	s_wait_xcnt 0x0
	s_and_saveexec_b32 s26, s100
	s_cbranch_execz .LBB13_57
; %bb.56:                               ;   in Loop: Header=BB13_7 Depth=2
	scratch_load_b64 v[44:45], off, off offset:40 ; 8-byte Folded Reload
	s_wait_loadcnt 0x0
	v_lshl_add_u64 v[44:45], v[44:45], 3, v[72:73]
	global_load_b64 v[44:45], v[44:45], off
.LBB13_57:                              ;   in Loop: Header=BB13_7 Depth=2
	s_wait_xcnt 0x0
	s_or_b32 exec_lo, exec_lo, s26
	global_load_b64 v[54:55], v[8:9], off offset:200
	v_mov_b64_e32 v[52:53], 0
	v_mov_b64_e32 v[56:57], 0
	s_wait_xcnt 0x0
	s_and_saveexec_b32 s26, s63
	s_cbranch_execz .LBB13_59
; %bb.58:                               ;   in Loop: Header=BB13_7 Depth=2
	scratch_load_b64 v[56:57], off, off offset:136 ; 8-byte Folded Reload
	s_wait_loadcnt 0x0
	v_lshl_add_u64 v[56:57], v[56:57], 3, v[72:73]
	global_load_b64 v[56:57], v[56:57], off
.LBB13_59:                              ;   in Loop: Header=BB13_7 Depth=2
	s_wait_xcnt 0x0
	s_or_b32 exec_lo, exec_lo, s26
	global_load_b64 v[58:59], v[8:9], off offset:208
	s_wait_xcnt 0x0
	s_and_saveexec_b32 s26, s27
	s_cbranch_execz .LBB13_6
; %bb.60:                               ;   in Loop: Header=BB13_7 Depth=2
	v_lshl_add_u64 v[52:53], v[64:65], 3, v[72:73]
	global_load_b64 v[52:53], v[52:53], off
	s_branch .LBB13_6
.LBB13_61:                              ;   in Loop: Header=BB13_4 Depth=1
	v_mov_b64_e32 v[12:13], 0
	s_branch .LBB13_3
.LBB13_62:
	s_sendmsg sendmsg(MSG_DEALLOC_VGPRS)
	s_endpgm
	.section	.rodata,"a",@progbits
	.p2align	6, 0x0
	.amdhsa_kernel _ZN2at6native12_GLOBAL__N_143conv_depthwise3d_cuda_backward_input_kernelIddLi3ELi3ELi3ELi1ELi1ELi1ELin1ELin1ELin1EEEvN5torch10headeronly6detail27GenericPackedTensorAccessorINS5_14TensorAccessorIN3c108ArrayRefIlEEKT_Lm4ENS4_16DefaultPtrTraitsEiEENS_6detail16IndexBoundsCheckILm5EiEESC_Lm5ESD_iEENS6_INS7_ISA_SB_Lm4ESD_iEESH_SB_Lm5ESD_iEESI_iiiiiiiii
		.amdhsa_group_segment_fixed_size 0
		.amdhsa_private_segment_fixed_size 228
		.amdhsa_kernarg_size 440
		.amdhsa_user_sgpr_count 2
		.amdhsa_user_sgpr_dispatch_ptr 0
		.amdhsa_user_sgpr_queue_ptr 0
		.amdhsa_user_sgpr_kernarg_segment_ptr 1
		.amdhsa_user_sgpr_dispatch_id 0
		.amdhsa_user_sgpr_kernarg_preload_length 0
		.amdhsa_user_sgpr_kernarg_preload_offset 0
		.amdhsa_user_sgpr_private_segment_size 0
		.amdhsa_wavefront_size32 1
		.amdhsa_uses_dynamic_stack 0
		.amdhsa_enable_private_segment 1
		.amdhsa_system_sgpr_workgroup_id_x 1
		.amdhsa_system_sgpr_workgroup_id_y 0
		.amdhsa_system_sgpr_workgroup_id_z 0
		.amdhsa_system_sgpr_workgroup_info 0
		.amdhsa_system_vgpr_workitem_id 0
		.amdhsa_next_free_vgpr 128
		.amdhsa_next_free_sgpr 105
		.amdhsa_named_barrier_count 0
		.amdhsa_reserve_vcc 1
		.amdhsa_float_round_mode_32 0
		.amdhsa_float_round_mode_16_64 0
		.amdhsa_float_denorm_mode_32 3
		.amdhsa_float_denorm_mode_16_64 3
		.amdhsa_fp16_overflow 0
		.amdhsa_memory_ordered 1
		.amdhsa_forward_progress 1
		.amdhsa_inst_pref_size 60
		.amdhsa_round_robin_scheduling 0
		.amdhsa_exception_fp_ieee_invalid_op 0
		.amdhsa_exception_fp_denorm_src 0
		.amdhsa_exception_fp_ieee_div_zero 0
		.amdhsa_exception_fp_ieee_overflow 0
		.amdhsa_exception_fp_ieee_underflow 0
		.amdhsa_exception_fp_ieee_inexact 0
		.amdhsa_exception_int_div_zero 0
	.end_amdhsa_kernel
	.section	.text._ZN2at6native12_GLOBAL__N_143conv_depthwise3d_cuda_backward_input_kernelIddLi3ELi3ELi3ELi1ELi1ELi1ELin1ELin1ELin1EEEvN5torch10headeronly6detail27GenericPackedTensorAccessorINS5_14TensorAccessorIN3c108ArrayRefIlEEKT_Lm4ENS4_16DefaultPtrTraitsEiEENS_6detail16IndexBoundsCheckILm5EiEESC_Lm5ESD_iEENS6_INS7_ISA_SB_Lm4ESD_iEESH_SB_Lm5ESD_iEESI_iiiiiiiii,"axG",@progbits,_ZN2at6native12_GLOBAL__N_143conv_depthwise3d_cuda_backward_input_kernelIddLi3ELi3ELi3ELi1ELi1ELi1ELin1ELin1ELin1EEEvN5torch10headeronly6detail27GenericPackedTensorAccessorINS5_14TensorAccessorIN3c108ArrayRefIlEEKT_Lm4ENS4_16DefaultPtrTraitsEiEENS_6detail16IndexBoundsCheckILm5EiEESC_Lm5ESD_iEENS6_INS7_ISA_SB_Lm4ESD_iEESH_SB_Lm5ESD_iEESI_iiiiiiiii,comdat
.Lfunc_end13:
	.size	_ZN2at6native12_GLOBAL__N_143conv_depthwise3d_cuda_backward_input_kernelIddLi3ELi3ELi3ELi1ELi1ELi1ELin1ELin1ELin1EEEvN5torch10headeronly6detail27GenericPackedTensorAccessorINS5_14TensorAccessorIN3c108ArrayRefIlEEKT_Lm4ENS4_16DefaultPtrTraitsEiEENS_6detail16IndexBoundsCheckILm5EiEESC_Lm5ESD_iEENS6_INS7_ISA_SB_Lm4ESD_iEESH_SB_Lm5ESD_iEESI_iiiiiiiii, .Lfunc_end13-_ZN2at6native12_GLOBAL__N_143conv_depthwise3d_cuda_backward_input_kernelIddLi3ELi3ELi3ELi1ELi1ELi1ELin1ELin1ELin1EEEvN5torch10headeronly6detail27GenericPackedTensorAccessorINS5_14TensorAccessorIN3c108ArrayRefIlEEKT_Lm4ENS4_16DefaultPtrTraitsEiEENS_6detail16IndexBoundsCheckILm5EiEESC_Lm5ESD_iEENS6_INS7_ISA_SB_Lm4ESD_iEESH_SB_Lm5ESD_iEESI_iiiiiiiii
                                        ; -- End function
	.set _ZN2at6native12_GLOBAL__N_143conv_depthwise3d_cuda_backward_input_kernelIddLi3ELi3ELi3ELi1ELi1ELi1ELin1ELin1ELin1EEEvN5torch10headeronly6detail27GenericPackedTensorAccessorINS5_14TensorAccessorIN3c108ArrayRefIlEEKT_Lm4ENS4_16DefaultPtrTraitsEiEENS_6detail16IndexBoundsCheckILm5EiEESC_Lm5ESD_iEENS6_INS7_ISA_SB_Lm4ESD_iEESH_SB_Lm5ESD_iEESI_iiiiiiiii.num_vgpr, 128
	.set _ZN2at6native12_GLOBAL__N_143conv_depthwise3d_cuda_backward_input_kernelIddLi3ELi3ELi3ELi1ELi1ELi1ELin1ELin1ELin1EEEvN5torch10headeronly6detail27GenericPackedTensorAccessorINS5_14TensorAccessorIN3c108ArrayRefIlEEKT_Lm4ENS4_16DefaultPtrTraitsEiEENS_6detail16IndexBoundsCheckILm5EiEESC_Lm5ESD_iEENS6_INS7_ISA_SB_Lm4ESD_iEESH_SB_Lm5ESD_iEESI_iiiiiiiii.num_agpr, 0
	.set _ZN2at6native12_GLOBAL__N_143conv_depthwise3d_cuda_backward_input_kernelIddLi3ELi3ELi3ELi1ELi1ELi1ELin1ELin1ELin1EEEvN5torch10headeronly6detail27GenericPackedTensorAccessorINS5_14TensorAccessorIN3c108ArrayRefIlEEKT_Lm4ENS4_16DefaultPtrTraitsEiEENS_6detail16IndexBoundsCheckILm5EiEESC_Lm5ESD_iEENS6_INS7_ISA_SB_Lm4ESD_iEESH_SB_Lm5ESD_iEESI_iiiiiiiii.numbered_sgpr, 105
	.set _ZN2at6native12_GLOBAL__N_143conv_depthwise3d_cuda_backward_input_kernelIddLi3ELi3ELi3ELi1ELi1ELi1ELin1ELin1ELin1EEEvN5torch10headeronly6detail27GenericPackedTensorAccessorINS5_14TensorAccessorIN3c108ArrayRefIlEEKT_Lm4ENS4_16DefaultPtrTraitsEiEENS_6detail16IndexBoundsCheckILm5EiEESC_Lm5ESD_iEENS6_INS7_ISA_SB_Lm4ESD_iEESH_SB_Lm5ESD_iEESI_iiiiiiiii.num_named_barrier, 0
	.set _ZN2at6native12_GLOBAL__N_143conv_depthwise3d_cuda_backward_input_kernelIddLi3ELi3ELi3ELi1ELi1ELi1ELin1ELin1ELin1EEEvN5torch10headeronly6detail27GenericPackedTensorAccessorINS5_14TensorAccessorIN3c108ArrayRefIlEEKT_Lm4ENS4_16DefaultPtrTraitsEiEENS_6detail16IndexBoundsCheckILm5EiEESC_Lm5ESD_iEENS6_INS7_ISA_SB_Lm4ESD_iEESH_SB_Lm5ESD_iEESI_iiiiiiiii.private_seg_size, 228
	.set _ZN2at6native12_GLOBAL__N_143conv_depthwise3d_cuda_backward_input_kernelIddLi3ELi3ELi3ELi1ELi1ELi1ELin1ELin1ELin1EEEvN5torch10headeronly6detail27GenericPackedTensorAccessorINS5_14TensorAccessorIN3c108ArrayRefIlEEKT_Lm4ENS4_16DefaultPtrTraitsEiEENS_6detail16IndexBoundsCheckILm5EiEESC_Lm5ESD_iEENS6_INS7_ISA_SB_Lm4ESD_iEESH_SB_Lm5ESD_iEESI_iiiiiiiii.uses_vcc, 1
	.set _ZN2at6native12_GLOBAL__N_143conv_depthwise3d_cuda_backward_input_kernelIddLi3ELi3ELi3ELi1ELi1ELi1ELin1ELin1ELin1EEEvN5torch10headeronly6detail27GenericPackedTensorAccessorINS5_14TensorAccessorIN3c108ArrayRefIlEEKT_Lm4ENS4_16DefaultPtrTraitsEiEENS_6detail16IndexBoundsCheckILm5EiEESC_Lm5ESD_iEENS6_INS7_ISA_SB_Lm4ESD_iEESH_SB_Lm5ESD_iEESI_iiiiiiiii.uses_flat_scratch, 1
	.set _ZN2at6native12_GLOBAL__N_143conv_depthwise3d_cuda_backward_input_kernelIddLi3ELi3ELi3ELi1ELi1ELi1ELin1ELin1ELin1EEEvN5torch10headeronly6detail27GenericPackedTensorAccessorINS5_14TensorAccessorIN3c108ArrayRefIlEEKT_Lm4ENS4_16DefaultPtrTraitsEiEENS_6detail16IndexBoundsCheckILm5EiEESC_Lm5ESD_iEENS6_INS7_ISA_SB_Lm4ESD_iEESH_SB_Lm5ESD_iEESI_iiiiiiiii.has_dyn_sized_stack, 0
	.set _ZN2at6native12_GLOBAL__N_143conv_depthwise3d_cuda_backward_input_kernelIddLi3ELi3ELi3ELi1ELi1ELi1ELin1ELin1ELin1EEEvN5torch10headeronly6detail27GenericPackedTensorAccessorINS5_14TensorAccessorIN3c108ArrayRefIlEEKT_Lm4ENS4_16DefaultPtrTraitsEiEENS_6detail16IndexBoundsCheckILm5EiEESC_Lm5ESD_iEENS6_INS7_ISA_SB_Lm4ESD_iEESH_SB_Lm5ESD_iEESI_iiiiiiiii.has_recursion, 0
	.set _ZN2at6native12_GLOBAL__N_143conv_depthwise3d_cuda_backward_input_kernelIddLi3ELi3ELi3ELi1ELi1ELi1ELin1ELin1ELin1EEEvN5torch10headeronly6detail27GenericPackedTensorAccessorINS5_14TensorAccessorIN3c108ArrayRefIlEEKT_Lm4ENS4_16DefaultPtrTraitsEiEENS_6detail16IndexBoundsCheckILm5EiEESC_Lm5ESD_iEENS6_INS7_ISA_SB_Lm4ESD_iEESH_SB_Lm5ESD_iEESI_iiiiiiiii.has_indirect_call, 0
	.section	.AMDGPU.csdata,"",@progbits
; Kernel info:
; codeLenInByte = 7628
; TotalNumSgprs: 107
; NumVgprs: 128
; ScratchSize: 228
; MemoryBound: 0
; FloatMode: 240
; IeeeMode: 1
; LDSByteSize: 0 bytes/workgroup (compile time only)
; SGPRBlocks: 0
; VGPRBlocks: 7
; NumSGPRsForWavesPerEU: 107
; NumVGPRsForWavesPerEU: 128
; NamedBarCnt: 0
; Occupancy: 8
; WaveLimiterHint : 0
; COMPUTE_PGM_RSRC2:SCRATCH_EN: 1
; COMPUTE_PGM_RSRC2:USER_SGPR: 2
; COMPUTE_PGM_RSRC2:TRAP_HANDLER: 0
; COMPUTE_PGM_RSRC2:TGID_X_EN: 1
; COMPUTE_PGM_RSRC2:TGID_Y_EN: 0
; COMPUTE_PGM_RSRC2:TGID_Z_EN: 0
; COMPUTE_PGM_RSRC2:TIDIG_COMP_CNT: 0
	.section	.text._ZN2at6native12_GLOBAL__N_143conv_depthwise3d_cuda_backward_input_kernelIddLi3ELi3ELi3ELin1ELin1ELin1ELi1ELi1ELi1EEEvN5torch10headeronly6detail27GenericPackedTensorAccessorINS5_14TensorAccessorIN3c108ArrayRefIlEEKT_Lm4ENS4_16DefaultPtrTraitsEiEENS_6detail16IndexBoundsCheckILm5EiEESC_Lm5ESD_iEENS6_INS7_ISA_SB_Lm4ESD_iEESH_SB_Lm5ESD_iEESI_iiiiiiiii,"axG",@progbits,_ZN2at6native12_GLOBAL__N_143conv_depthwise3d_cuda_backward_input_kernelIddLi3ELi3ELi3ELin1ELin1ELin1ELi1ELi1ELi1EEEvN5torch10headeronly6detail27GenericPackedTensorAccessorINS5_14TensorAccessorIN3c108ArrayRefIlEEKT_Lm4ENS4_16DefaultPtrTraitsEiEENS_6detail16IndexBoundsCheckILm5EiEESC_Lm5ESD_iEENS6_INS7_ISA_SB_Lm4ESD_iEESH_SB_Lm5ESD_iEESI_iiiiiiiii,comdat
	.globl	_ZN2at6native12_GLOBAL__N_143conv_depthwise3d_cuda_backward_input_kernelIddLi3ELi3ELi3ELin1ELin1ELin1ELi1ELi1ELi1EEEvN5torch10headeronly6detail27GenericPackedTensorAccessorINS5_14TensorAccessorIN3c108ArrayRefIlEEKT_Lm4ENS4_16DefaultPtrTraitsEiEENS_6detail16IndexBoundsCheckILm5EiEESC_Lm5ESD_iEENS6_INS7_ISA_SB_Lm4ESD_iEESH_SB_Lm5ESD_iEESI_iiiiiiiii ; -- Begin function _ZN2at6native12_GLOBAL__N_143conv_depthwise3d_cuda_backward_input_kernelIddLi3ELi3ELi3ELin1ELin1ELin1ELi1ELi1ELi1EEEvN5torch10headeronly6detail27GenericPackedTensorAccessorINS5_14TensorAccessorIN3c108ArrayRefIlEEKT_Lm4ENS4_16DefaultPtrTraitsEiEENS_6detail16IndexBoundsCheckILm5EiEESC_Lm5ESD_iEENS6_INS7_ISA_SB_Lm4ESD_iEESH_SB_Lm5ESD_iEESI_iiiiiiiii
	.p2align	8
	.type	_ZN2at6native12_GLOBAL__N_143conv_depthwise3d_cuda_backward_input_kernelIddLi3ELi3ELi3ELin1ELin1ELin1ELi1ELi1ELi1EEEvN5torch10headeronly6detail27GenericPackedTensorAccessorINS5_14TensorAccessorIN3c108ArrayRefIlEEKT_Lm4ENS4_16DefaultPtrTraitsEiEENS_6detail16IndexBoundsCheckILm5EiEESC_Lm5ESD_iEENS6_INS7_ISA_SB_Lm4ESD_iEESH_SB_Lm5ESD_iEESI_iiiiiiiii,@function
_ZN2at6native12_GLOBAL__N_143conv_depthwise3d_cuda_backward_input_kernelIddLi3ELi3ELi3ELin1ELin1ELin1ELi1ELi1ELi1EEEvN5torch10headeronly6detail27GenericPackedTensorAccessorINS5_14TensorAccessorIN3c108ArrayRefIlEEKT_Lm4ENS4_16DefaultPtrTraitsEiEENS_6detail16IndexBoundsCheckILm5EiEESC_Lm5ESD_iEENS6_INS7_ISA_SB_Lm4ESD_iEESH_SB_Lm5ESD_iEESI_iiiiiiiii: ; @_ZN2at6native12_GLOBAL__N_143conv_depthwise3d_cuda_backward_input_kernelIddLi3ELi3ELi3ELin1ELin1ELin1ELi1ELi1ELi1EEEvN5torch10headeronly6detail27GenericPackedTensorAccessorINS5_14TensorAccessorIN3c108ArrayRefIlEEKT_Lm4ENS4_16DefaultPtrTraitsEiEENS_6detail16IndexBoundsCheckILm5EiEESC_Lm5ESD_iEENS6_INS7_ISA_SB_Lm4ESD_iEESH_SB_Lm5ESD_iEESI_iiiiiiiii
; %bb.0:
	s_clause 0x1
	s_load_b128 s[4:7], s[0:1], 0x38
	s_load_b32 s2, s[0:1], 0xc4
	s_bfe_u32 s3, ttmp6, 0x4000c
	s_load_b64 s[20:21], s[0:1], 0x48
	s_add_co_i32 s3, s3, 1
	s_and_b32 s8, ttmp6, 15
	s_mul_i32 s3, ttmp9, s3
	s_getreg_b32 s9, hwreg(HW_REG_IB_STS2, 6, 4)
	v_dual_mov_b32 v10, v0 :: v_dual_mov_b32 v11, 0
	s_add_co_i32 s8, s8, s3
	s_mov_b32 s25, 0
	s_wait_kmcnt 0x0
	s_abs_i32 s33, s5
	s_and_b32 s2, s2, 0xffff
	s_cmp_eq_u32 s9, 0
	s_mul_i32 s22, s21, s4
	s_cselect_b32 s3, ttmp9, s8
	s_ashr_i32 s23, s22, 31
	v_mad_nc_u64_u32 v[12:13], s2, s3, v[10:11]
	s_cvt_f32_u32 s3, s33
	s_mov_b32 s4, exec_lo
	s_delay_alu instid0(SALU_CYCLE_2) | instskip(SKIP_1) | instid1(TRANS32_DEP_1)
	v_rcp_iflag_f32_e32 v0, s3
	v_nop
	v_readfirstlane_b32 s3, v0
	s_delay_alu instid0(VALU_DEP_3)
	v_cmpx_gt_i64_e64 s[22:23], v[12:13]
	s_cbranch_execz .LBB14_62
; %bb.1:
	s_clause 0x1
	s_load_b128 s[8:11], s[0:1], 0xc
	s_load_b64 s[28:29], s[0:1], 0x0
	s_mul_f32 s3, s3, 0x4f7ffffe
	s_sub_co_i32 s4, 0, s33
	s_mov_b32 s17, s25
	s_ashr_i32 s46, s5, 31
	s_cvt_u32_f32 s3, s3
	s_add_nc_u64 s[18:19], s[0:1], 0xb8
	s_clause 0x4
	s_load_b64 s[26:27], s[0:1], 0xac
	s_load_b128 s[12:15], s[0:1], 0x9c
	s_load_b32 s47, s[0:1], 0x7c
	s_load_b64 s[30:31], s[0:1], 0x1c
	s_load_b64 s[34:35], s[0:1], 0x30
	s_mul_i32 s16, s4, s3
	s_load_b32 s38, s[18:19], 0x0
	s_mul_hi_u32 s16, s3, s16
	s_mov_b32 s41, s25
	s_add_co_i32 s16, s3, s16
	v_readfirstlane_b32 s3, v0
	s_mov_b32 s43, s25
	s_mov_b32 s45, s25
	;; [unrolled: 1-line block ×3, first 2 shown]
	s_wait_kmcnt 0x0
	s_abs_i32 s24, s8
	s_ashr_i32 s8, s8, 31
	s_mul_u64 s[16:17], s[24:25], s[16:17]
	s_xor_b32 s8, s8, s46
	s_mul_i32 s16, s17, s33
	s_delay_alu instid0(SALU_CYCLE_1)
	s_sub_co_i32 s16, s24, s16
	s_add_co_i32 s24, s17, 1
	s_sub_co_i32 s36, s16, s33
	s_cmp_ge_u32 s16, s33
	s_cselect_b32 s24, s24, s17
	s_cselect_b32 s16, s36, s16
	s_add_co_i32 s39, s24, 1
	s_cmp_ge_u32 s16, s33
	s_clause 0x1
	s_load_b64 s[36:37], s[0:1], 0x60
	s_load_b128 s[16:19], s[0:1], 0x50
	s_wait_xcnt 0x0
	s_cselect_b32 s0, s39, s24
	s_mul_f32 s1, s3, 0x4f7ffffe
	s_xor_b32 s0, s0, s8
	s_mul_i32 s24, s38, s2
	s_sub_co_i32 s8, s0, s8
	s_cvt_u32_f32 s0, s1
	s_cmp_gt_i32 s8, 0
	s_mov_b32 s39, s25
	s_cselect_b32 s48, -1, 0
	s_abs_i32 s49, s20
	s_abs_i32 s51, s6
	s_cvt_f32_u32 s1, s49
	s_abs_i32 s50, s7
	s_cvt_f32_u32 s2, s51
	s_cvt_f32_u32 s3, s50
	v_rcp_iflag_f32_e32 v0, s1
	s_sub_co_i32 s38, 0, s49
	v_rcp_iflag_f32_e32 v2, s2
	v_rcp_iflag_f32_e32 v1, s3
	s_sub_co_i32 s42, 0, s51
	s_sub_co_i32 s40, 0, s50
	s_mul_i32 s4, s4, s0
	v_readfirstlane_b32 s1, v0
	s_lshl_b32 s52, s27, 1
	v_readfirstlane_b32 s3, v2
	v_readfirstlane_b32 s2, v1
	s_lshl_b32 s53, s26, 1
	s_mul_f32 s1, s1, 0x4f7ffffe
	s_lshl_b32 s54, s15, 1
	s_mul_f32 s3, s3, 0x4f7ffffe
	s_mul_f32 s2, s2, 0x4f7ffffe
	s_cvt_u32_f32 s1, s1
	s_ashr_i32 s55, s20, 31
	s_cvt_u32_f32 s3, s3
	s_cvt_u32_f32 s2, s2
	s_mul_i32 s38, s38, s1
	s_ashr_i32 s56, s7, 31
	s_mul_hi_u32 s38, s1, s38
	s_mul_i32 s42, s42, s3
	s_mul_i32 s40, s40, s2
	s_add_co_i32 s38, s1, s38
	s_mul_hi_u32 s1, s3, s42
	s_mul_hi_u32 s40, s2, s40
	s_add_co_i32 s42, s3, s1
	s_mul_hi_u32 s1, s0, s4
	s_add_co_i32 s40, s2, s40
	s_ashr_i32 s57, s6, 31
	s_add_co_i32 s44, s0, s1
	s_mul_i32 s58, s31, s8
	s_branch .LBB14_4
.LBB14_2:                               ;   in Loop: Header=BB14_4 Depth=1
	s_or_b32 exec_lo, exec_lo, s0
	s_clause 0x6
	scratch_load_b64 v[10:11], off, off offset:184
	scratch_load_b64 v[12:13], off, off offset:192
	scratch_load_b32 v7, off, off offset:200
	scratch_load_b32 v8, off, off offset:204
	;; [unrolled: 1-line block ×5, first 2 shown]
.LBB14_3:                               ;   in Loop: Header=BB14_4 Depth=1
	s_wait_loadcnt 0x1
	v_mul_lo_u32 v0, v9, s21
	s_wait_loadcnt 0x0
	s_wait_kmcnt 0x0
	v_mul_lo_u32 v2, s16, v33
	v_mul_lo_u32 v4, s17, v1
	;; [unrolled: 1-line block ×4, first 2 shown]
	v_add_nc_u64_e32 v[12:13], s[24:25], v[12:13]
	v_dual_ashrrev_i32 v1, 31, v0 :: v_dual_ashrrev_i32 v3, 31, v2
	s_delay_alu instid0(VALU_DEP_4) | instskip(NEXT) | instid1(VALU_DEP_4)
	v_dual_ashrrev_i32 v5, 31, v4 :: v_dual_ashrrev_i32 v7, 31, v6
	v_ashrrev_i32_e32 v9, 31, v8
	s_delay_alu instid0(VALU_DEP_3) | instskip(SKIP_1) | instid1(VALU_DEP_2)
	v_lshl_add_u64 v[0:1], v[0:1], 3, s[34:35]
	v_cmp_le_i64_e32 vcc_lo, s[22:23], v[12:13]
	v_lshl_add_u64 v[0:1], v[2:3], 3, v[0:1]
	s_or_b32 s59, vcc_lo, s59
	s_delay_alu instid0(VALU_DEP_1) | instskip(NEXT) | instid1(VALU_DEP_1)
	v_lshl_add_u64 v[0:1], v[4:5], 3, v[0:1]
	v_lshl_add_u64 v[0:1], v[6:7], 3, v[0:1]
	s_delay_alu instid0(VALU_DEP_1)
	v_lshl_add_u64 v[0:1], v[8:9], 3, v[0:1]
	global_store_b64 v[0:1], v[52:53], off
	s_wait_xcnt 0x0
	s_and_not1_b32 exec_lo, exec_lo, s59
	s_cbranch_execz .LBB14_62
.LBB14_4:                               ; =>This Loop Header: Depth=1
                                        ;     Child Loop BB14_7 Depth 2
	v_sub_nc_u32_e32 v0, 0, v12
	s_delay_alu instid0(VALU_DEP_1) | instskip(NEXT) | instid1(VALU_DEP_1)
	v_max_i32_e32 v10, v12, v0
	v_mul_u64_e32 v[0:1], s[38:39], v[10:11]
	s_delay_alu instid0(VALU_DEP_1) | instskip(NEXT) | instid1(VALU_DEP_1)
	v_mul_lo_u32 v0, v1, s49
	v_dual_add_nc_u32 v2, 1, v1 :: v_dual_sub_nc_u32 v0, v10, v0
	s_delay_alu instid0(VALU_DEP_1) | instskip(SKIP_1) | instid1(VALU_DEP_3)
	v_subrev_nc_u32_e32 v3, s49, v0
	v_cmp_le_u32_e32 vcc_lo, s49, v0
	v_dual_cndmask_b32 v1, v1, v2 :: v_dual_ashrrev_i32 v2, 31, v12
	s_delay_alu instid0(VALU_DEP_1) | instskip(NEXT) | instid1(VALU_DEP_1)
	v_dual_cndmask_b32 v0, v0, v3 :: v_dual_add_nc_u32 v3, 1, v1
	v_cmp_le_u32_e32 vcc_lo, s49, v0
	s_delay_alu instid0(VALU_DEP_2) | instskip(NEXT) | instid1(VALU_DEP_1)
	v_dual_cndmask_b32 v0, v1, v3, vcc_lo :: v_dual_bitop2_b32 v2, s55, v2 bitop3:0x14
	v_xor_b32_e32 v0, v0, v2
	s_delay_alu instid0(VALU_DEP_1) | instskip(NEXT) | instid1(VALU_DEP_1)
	v_sub_nc_u32_e32 v2, v0, v2
	v_sub_nc_u32_e32 v0, 0, v2
	s_delay_alu instid0(VALU_DEP_1) | instskip(NEXT) | instid1(VALU_DEP_1)
	v_max_i32_e32 v10, v2, v0
	v_mul_u64_e32 v[0:1], s[40:41], v[10:11]
	s_delay_alu instid0(VALU_DEP_1) | instskip(NEXT) | instid1(VALU_DEP_1)
	v_mul_lo_u32 v0, v1, s50
	v_dual_add_nc_u32 v3, 1, v1 :: v_dual_sub_nc_u32 v0, v10, v0
	s_delay_alu instid0(VALU_DEP_1) | instskip(SKIP_1) | instid1(VALU_DEP_2)
	v_subrev_nc_u32_e32 v4, s50, v0
	v_cmp_le_u32_e32 vcc_lo, s50, v0
	v_dual_cndmask_b32 v1, v1, v3 :: v_dual_cndmask_b32 v0, v0, v4
	s_delay_alu instid0(VALU_DEP_1) | instskip(NEXT) | instid1(VALU_DEP_2)
	v_dual_ashrrev_i32 v3, 31, v2 :: v_dual_add_nc_u32 v4, 1, v1
	v_cmp_le_u32_e32 vcc_lo, s50, v0
	s_delay_alu instid0(VALU_DEP_2) | instskip(NEXT) | instid1(VALU_DEP_1)
	v_dual_cndmask_b32 v0, v1, v4, vcc_lo :: v_dual_bitop2_b32 v3, s56, v3 bitop3:0x14
	v_xor_b32_e32 v0, v0, v3
	s_delay_alu instid0(VALU_DEP_1) | instskip(NEXT) | instid1(VALU_DEP_1)
	v_sub_nc_u32_e32 v3, v0, v3
	v_sub_nc_u32_e32 v0, 0, v3
	s_delay_alu instid0(VALU_DEP_1) | instskip(NEXT) | instid1(VALU_DEP_1)
	v_max_i32_e32 v10, v3, v0
	v_mul_u64_e32 v[0:1], s[42:43], v[10:11]
	s_delay_alu instid0(VALU_DEP_1) | instskip(NEXT) | instid1(VALU_DEP_1)
	v_mul_lo_u32 v0, v1, s51
	v_dual_add_nc_u32 v4, 1, v1 :: v_dual_sub_nc_u32 v0, v10, v0
	s_delay_alu instid0(VALU_DEP_1) | instskip(SKIP_1) | instid1(VALU_DEP_3)
	v_subrev_nc_u32_e32 v5, s51, v0
	v_cmp_le_u32_e32 vcc_lo, s51, v0
	v_dual_cndmask_b32 v1, v1, v4 :: v_dual_ashrrev_i32 v4, 31, v3
	s_delay_alu instid0(VALU_DEP_1) | instskip(NEXT) | instid1(VALU_DEP_2)
	v_dual_cndmask_b32 v0, v0, v5, vcc_lo :: v_dual_bitop2_b32 v4, s57, v4 bitop3:0x14
	v_add_nc_u32_e32 v5, 1, v1
	s_delay_alu instid0(VALU_DEP_2) | instskip(NEXT) | instid1(VALU_DEP_2)
	v_cmp_le_u32_e32 vcc_lo, s51, v0
	v_cndmask_b32_e32 v0, v1, v5, vcc_lo
	s_delay_alu instid0(VALU_DEP_1) | instskip(NEXT) | instid1(VALU_DEP_1)
	v_xor_b32_e32 v0, v0, v4
	v_sub_nc_u32_e32 v4, v0, v4
	s_delay_alu instid0(VALU_DEP_1) | instskip(NEXT) | instid1(VALU_DEP_1)
	v_sub_nc_u32_e32 v0, 0, v4
	v_max_i32_e32 v10, v4, v0
	s_delay_alu instid0(VALU_DEP_1) | instskip(NEXT) | instid1(VALU_DEP_1)
	v_mul_u64_e32 v[0:1], s[44:45], v[10:11]
	v_mul_lo_u32 v0, v1, s33
	s_delay_alu instid0(VALU_DEP_1) | instskip(NEXT) | instid1(VALU_DEP_1)
	v_dual_add_nc_u32 v5, 1, v1 :: v_dual_sub_nc_u32 v0, v10, v0
	v_cmp_le_u32_e32 vcc_lo, s33, v0
	s_delay_alu instid0(VALU_DEP_2) | instskip(NEXT) | instid1(VALU_DEP_1)
	v_dual_cndmask_b32 v1, v1, v5, vcc_lo :: v_dual_ashrrev_i32 v5, 31, v4
	v_xor_b32_e32 v5, s46, v5
	v_subrev_nc_u32_e32 v6, s33, v0
	s_delay_alu instid0(VALU_DEP_1) | instskip(NEXT) | instid1(VALU_DEP_1)
	v_dual_cndmask_b32 v0, v0, v6, vcc_lo :: v_dual_add_nc_u32 v6, 1, v1
	v_cmp_le_u32_e32 vcc_lo, s33, v0
	s_delay_alu instid0(VALU_DEP_2) | instskip(SKIP_2) | instid1(VALU_DEP_2)
	v_cndmask_b32_e32 v0, v1, v6, vcc_lo
	v_mul_lo_u32 v1, v3, s7
	s_and_not1_b32 vcc_lo, exec_lo, s48
	v_xor_b32_e32 v0, v0, v5
	s_delay_alu instid0(VALU_DEP_1) | instskip(SKIP_3) | instid1(VALU_DEP_4)
	v_sub_nc_u32_e32 v9, v0, v5
	v_mul_lo_u32 v0, v2, s20
	v_mul_lo_u32 v5, v4, s6
	v_sub_nc_u32_e32 v8, v2, v1
	v_mul_lo_u32 v6, v9, s5
	s_delay_alu instid0(VALU_DEP_3) | instskip(NEXT) | instid1(VALU_DEP_2)
	v_dual_sub_nc_u32 v7, v12, v0 :: v_dual_sub_nc_u32 v1, v3, v5
	v_sub_nc_u32_e32 v33, v4, v6
	s_cbranch_vccnz .LBB14_61
; %bb.5:                                ;   in Loop: Header=BB14_4 Depth=1
	s_clause 0x2
	scratch_store_b64 off, v[12:13], off offset:192
	scratch_store_b64 off, v[10:11], off offset:184
	scratch_store_b32 off, v1, off offset:208
	s_wait_xcnt 0x2
	v_dual_add_nc_u32 v13, s12, v1 :: v_dual_add_nc_u32 v5, s13, v8
	scratch_store_b32 off, v7, off offset:200 ; 4-byte Folded Spill
	v_mul_lo_u32 v6, s30, v9
	v_mul_lo_u32 v54, v33, s8
	;; [unrolled: 1-line block ×3, first 2 shown]
	v_add_nc_u32_e32 v0, s14, v7
	v_subrev_nc_u32_e32 v4, s26, v5
	s_wait_xcnt 0x2
	v_subrev_nc_u32_e32 v10, s54, v13
	v_subrev_nc_u32_e32 v15, s15, v13
	v_cmp_gt_i32_e64 s0, s10, v5
	v_cmp_gt_i32_e32 vcc_lo, s9, v13
	v_subrev_nc_u32_e32 v2, s53, v5
	v_mul_lo_u32 v64, s58, v33
	v_mov_b64_e32 v[52:53], 0
	v_add_nc_u32_e32 v55, s8, v54
	s_wait_xcnt 0x0
	v_dual_add_nc_u32 v7, v5, v14 :: v_dual_bitop2_b32 v3, v0, v5 bitop3:0x54
	v_subrev_nc_u32_e32 v1, s27, v0
	v_cmp_gt_i32_e64 s1, s11, v0
	v_add_nc_u32_e32 v27, v4, v14
	s_delay_alu instid0(VALU_DEP_4)
	v_mul_lo_u32 v19, v7, s11
	v_dual_ashrrev_i32 v7, 31, v6 :: v_dual_bitop2_b32 v17, v0, v4 bitop3:0x54
	v_or_b32_e32 v18, v3, v15
	v_or_b32_e32 v21, v1, v5
	s_and_b32 s78, s1, s0
	v_cmp_gt_i32_e64 s2, s11, v1
	v_lshl_add_u64 v[6:7], v[6:7], 3, s[28:29]
	v_add_nc_u32_e32 v14, v2, v14
	scratch_store_b32 off, v33, off offset:216 ; 4-byte Folded Spill
	v_dual_add_nc_u32 v24, v0, v19 :: v_dual_bitop2_b32 v11, v3, v10 bitop3:0x54
	v_or_b32_e32 v3, v3, v13
	s_and_b32 s79, s2, s0
	v_mul_lo_u32 v14, v14, s11
	s_delay_alu instid0(VALU_DEP_3) | instskip(NEXT) | instid1(VALU_DEP_3)
	v_ashrrev_i32_e32 v25, 31, v24
	v_cmp_lt_i32_e64 s3, -1, v3
	v_or_b32_e32 v3, v21, v13
	s_and_b32 s3, s78, s3
	s_delay_alu instid0(SALU_CYCLE_1) | instskip(NEXT) | instid1(VALU_DEP_1)
	s_and_b32 s60, s3, vcc_lo
	v_cmp_lt_i32_e64 s3, -1, v3
	v_subrev_nc_u32_e32 v3, s52, v0
	v_or_b32_e32 v20, v1, v2
	s_and_b32 s3, s79, s3
	s_delay_alu instid0(VALU_DEP_2) | instskip(SKIP_3) | instid1(VALU_DEP_3)
	v_dual_add_nc_u32 v30, v3, v19 :: v_dual_bitop2_b32 v23, v3, v5 bitop3:0x54
	v_or_b32_e32 v22, v1, v4
	s_and_b32 s61, s3, vcc_lo
	v_cmp_gt_i32_e64 s3, s11, v3
	v_dual_ashrrev_i32 v31, 31, v30 :: v_dual_bitop2_b32 v26, v23, v13 bitop3:0x54
	scratch_store_b64 off, v[24:25], off    ; 8-byte Folded Spill
	s_wait_xcnt 0x0
	v_add_nc_u32_e32 v24, v1, v19
	v_or_b32_e32 v19, v17, v13
	v_cmp_lt_i32_e64 s4, -1, v26
	v_mul_lo_u32 v26, v27, s11
	v_or_b32_e32 v27, v22, v13
	s_and_b32 s80, s3, s0
	v_cmp_gt_i32_e64 s0, s10, v4
	s_and_b32 s4, s80, s4
	v_ashrrev_i32_e32 v25, 31, v24
	s_and_b32 s62, s4, vcc_lo
	v_cmp_lt_i32_e64 s4, -1, v19
	s_and_b32 s81, s1, s0
	s_and_b32 s82, s2, s0
	;; [unrolled: 1-line block ×3, first 2 shown]
	v_add_nc_u32_e32 v34, v3, v26
	s_and_b32 s4, s81, s4
	v_cmp_gt_i32_e64 s0, s10, v2
	s_and_b32 s63, s4, vcc_lo
	v_cmp_lt_i32_e64 s4, -1, v27
	v_ashrrev_i32_e32 v35, 31, v34
	s_clause 0x1
	scratch_store_b64 off, v[30:31], off offset:16
	scratch_store_b32 off, v8, off offset:204
	s_wait_xcnt 0x1
	v_add_nc_u32_e32 v30, v0, v26
	s_wait_xcnt 0x0
	v_mul_lo_u32 v8, s47, v54
	scratch_store_b64 off, v[34:35], off offset:40 ; 8-byte Folded Spill
	s_wait_xcnt 0x0
	v_add_nc_u32_e32 v34, v0, v14
	v_or_b32_e32 v16, v0, v2
	v_ashrrev_i32_e32 v31, 31, v30
	scratch_store_b64 off, v[24:25], off offset:8 ; 8-byte Folded Spill
	s_wait_xcnt 0x0
	v_dual_ashrrev_i32 v35, 31, v34 :: v_dual_bitop2_b32 v25, v3, v4 bitop3:0x54
	s_and_b32 s4, s82, s4
	s_clause 0x1
	scratch_store_b64 off, v[30:31], off offset:24
	scratch_store_b32 off, v9, off offset:212
	s_wait_xcnt 0x0
	v_dual_add_nc_u32 v30, v1, v26 :: v_dual_ashrrev_i32 v9, 31, v8
	v_or_b32_e32 v26, v16, v13
	scratch_store_b64 off, v[34:35], off offset:48 ; 8-byte Folded Spill
	s_wait_xcnt 0x0
	v_add_nc_u32_e32 v34, v1, v14
	v_dual_ashrrev_i32 v31, 31, v30 :: v_dual_bitop2_b32 v29, v25, v13 bitop3:0x54
	s_and_b32 s64, s4, vcc_lo
	s_and_b32 s84, s1, s0
	s_delay_alu instid0(VALU_DEP_2) | instskip(NEXT) | instid1(VALU_DEP_2)
	v_ashrrev_i32_e32 v35, 31, v34
	v_cmp_lt_i32_e64 s4, -1, v29
	scratch_store_b64 off, v[30:31], off offset:32 ; 8-byte Folded Spill
	s_wait_xcnt 0x0
	v_mul_lo_u32 v31, v15, s10
	v_or_b32_e32 v24, v3, v2
	s_and_b32 s85, s2, s0
	s_and_b32 s4, s83, s4
	v_add_nc_u32_e32 v14, v3, v14
	s_and_b32 s65, s4, vcc_lo
	v_cmp_lt_i32_e64 s4, -1, v26
	v_or_b32_e32 v26, v20, v13
	s_and_b32 s86, s3, s0
	v_cmp_lt_i32_e64 s0, -1, v18
	v_dual_add_nc_u32 v32, v5, v31 :: v_dual_bitop2_b32 v28, v23, v10 bitop3:0x54
	s_delay_alu instid0(VALU_DEP_3)
	v_cmp_lt_i32_e64 s1, -1, v26
	v_or_b32_e32 v13, v24, v13
	s_and_b32 s4, s84, s4
	v_or_b32_e32 v23, v23, v15
	v_or_b32_e32 v29, v16, v10
	s_and_b32 s1, s85, s1
	v_or_b32_e32 v16, v16, v15
	s_and_b32 s67, s1, vcc_lo
	v_cmp_lt_i32_e64 s1, -1, v13
	v_mul_lo_u32 v13, v32, s11
	v_or_b32_e32 v12, v21, v10
	v_or_b32_e32 v21, v21, v15
	;; [unrolled: 1-line block ×3, first 2 shown]
	s_and_b32 s1, s86, s1
	v_or_b32_e32 v17, v17, v15
	v_or_b32_e32 v27, v22, v10
	;; [unrolled: 1-line block ×3, first 2 shown]
	s_and_b32 s66, s4, vcc_lo
	v_or_b32_e32 v26, v20, v10
	v_or_b32_e32 v20, v20, v15
	v_or_b32_e32 v32, v24, v10
	v_or_b32_e32 v24, v24, v15
	s_and_b32 s68, s1, vcc_lo
	v_cmp_gt_i32_e32 vcc_lo, s9, v15
	v_dual_add_nc_u32 v36, v3, v13 :: v_dual_bitop2_b32 v30, v25, v10 bitop3:0x54
	v_dual_ashrrev_i32 v15, 31, v14 :: v_dual_bitop2_b32 v25, v25, v15 bitop3:0x54
	scratch_store_b64 off, v[34:35], off offset:56 ; 8-byte Folded Spill
	s_wait_xcnt 0x0
	v_add_nc_u32_e32 v34, v0, v13
	v_cmp_lt_i32_e64 s1, -1, v21
	s_and_b32 s0, s78, s0
	v_ashrrev_i32_e32 v37, 31, v36
	s_and_b32 s69, s0, vcc_lo
	v_ashrrev_i32_e32 v35, 31, v34
	scratch_store_b64 off, v[14:15], off offset:64 ; 8-byte Folded Spill
	s_wait_xcnt 0x0
	v_add_nc_u32_e32 v14, v4, v31
	s_and_b32 s0, s79, s1
	v_cmp_lt_i32_e64 s1, -1, v17
	s_and_b32 s70, s0, vcc_lo
	v_cmp_lt_i32_e64 s0, -1, v23
	v_mul_lo_u32 v14, v14, s11
	scratch_store_b64 off, v[34:35], off offset:72 ; 8-byte Folded Spill
	s_wait_xcnt 0x0
	v_dual_add_nc_u32 v34, v1, v13 :: v_dual_add_nc_u32 v13, v2, v31
	s_and_b32 s0, s80, s0
	v_mul_lo_u32 v15, v10, s10
	s_and_b32 s71, s0, vcc_lo
	s_and_b32 s0, s81, s1
	v_mul_lo_u32 v13, v13, s11
	v_ashrrev_i32_e32 v35, 31, v34
	s_and_b32 s72, s0, vcc_lo
	v_cmp_lt_i32_e64 s0, -1, v22
	v_add_nc_u32_e32 v22, v0, v14
	v_cmp_lt_i32_e64 s1, -1, v25
	scratch_store_b64 off, v[34:35], off offset:80 ; 8-byte Folded Spill
	s_wait_xcnt 0x0
	v_add_nc_u32_e32 v34, v1, v14
	s_and_b32 s0, s82, s0
	v_ashrrev_i32_e32 v23, 31, v22
	s_and_b32 s73, s0, vcc_lo
	v_cmp_lt_i32_e64 s0, -1, v16
	s_and_b32 s3, s83, s1
	v_cmp_lt_i32_e64 s1, -1, v20
	v_dual_add_nc_u32 v20, v0, v13 :: v_dual_add_nc_u32 v5, v5, v15
	s_and_b32 s0, s84, s0
	v_add_nc_u32_e32 v16, v3, v14
	s_and_b32 s75, s0, vcc_lo
	s_and_b32 s0, s85, s1
	v_mul_lo_u32 v5, v5, s11
	s_and_b32 s74, s3, vcc_lo
	s_and_b32 s76, s0, vcc_lo
	v_cmp_gt_i32_e64 s0, s9, v10
	v_add_nc_u32_e32 v10, v1, v13
	v_cmp_lt_i32_e64 s3, -1, v12
	v_dual_add_nc_u32 v12, v3, v13 :: v_dual_ashrrev_i32 v17, 31, v16
	v_ashrrev_i32_e32 v21, 31, v20
	v_cmp_lt_i32_e64 s1, -1, v11
	s_delay_alu instid0(VALU_DEP_3)
	v_dual_ashrrev_i32 v11, 31, v10 :: v_dual_ashrrev_i32 v13, 31, v12
	s_clause 0x1
	scratch_store_b64 off, v[16:17], off offset:112
	scratch_store_b64 off, v[20:21], off offset:120
	v_add_nc_u32_e32 v4, v4, v15
	s_clause 0x1
	scratch_store_b64 off, v[10:11], off offset:128
	scratch_store_b64 off, v[12:13], off offset:136
	s_wait_xcnt 0x0
	v_dual_add_nc_u32 v12, v1, v5 :: v_dual_add_nc_u32 v10, v0, v5
	v_mul_lo_u32 v4, v4, s11
	v_dual_add_nc_u32 v2, v2, v15 :: v_dual_ashrrev_i32 v35, 31, v34
	s_delay_alu instid0(VALU_DEP_3) | instskip(SKIP_1) | instid1(VALU_DEP_3)
	v_dual_ashrrev_i32 v13, 31, v12 :: v_dual_ashrrev_i32 v11, 31, v10
	v_cmp_lt_i32_e64 s2, -1, v24
	v_mul_lo_u32 v2, v2, s11
	s_and_b32 s1, s78, s1
	s_and_b32 s3, s79, s3
	scratch_store_b64 off, v[10:11], off offset:144 ; 8-byte Folded Spill
	s_wait_xcnt 0x0
	v_add_nc_u32_e32 v10, v3, v5
	s_and_b32 s2, s86, s2
	s_and_b32 s78, s1, s0
	v_cmp_lt_i32_e64 s1, -1, v19
	s_and_b32 s77, s2, vcc_lo
	v_cmp_lt_i32_e32 vcc_lo, -1, v28
	v_cmp_lt_i32_e64 s2, -1, v27
	v_ashrrev_i32_e32 v11, 31, v10
	scratch_store_b64 off, v[12:13], off offset:152 ; 8-byte Folded Spill
	s_wait_xcnt 0x0
	v_add_nc_u32_e32 v12, v0, v4
	s_and_b32 s1, s81, s1
	s_and_b32 s79, s3, s0
	s_and_b32 s3, s80, vcc_lo
	s_and_b32 s81, s1, s0
	s_and_b32 s1, s82, s2
	v_ashrrev_i32_e32 v13, 31, v12
	scratch_store_b64 off, v[10:11], off offset:160 ; 8-byte Folded Spill
	s_wait_xcnt 0x0
	v_dual_add_nc_u32 v10, v1, v4 :: v_dual_add_nc_u32 v56, v3, v4
	v_dual_add_nc_u32 v58, v0, v2 :: v_dual_add_nc_u32 v60, v1, v2
	v_add_nc_u32_e32 v62, v3, v2
	v_cmp_lt_i32_e64 s4, -1, v30
	s_and_b32 s80, s3, s0
	v_cmp_lt_i32_e32 vcc_lo, -1, v29
	v_cmp_lt_i32_e64 s3, -1, v26
	s_and_b32 s2, s1, s0
	v_cmp_lt_i32_e64 s1, -1, v32
	s_wait_kmcnt 0x0
	v_lshl_add_u64 v[8:9], v[8:9], 3, s[36:37]
	v_dual_ashrrev_i32 v11, 31, v10 :: v_dual_ashrrev_i32 v57, 31, v56
	v_dual_ashrrev_i32 v59, 31, v58 :: v_dual_ashrrev_i32 v61, 31, v60
	v_ashrrev_i32_e32 v63, 31, v62
	s_and_b32 s4, s83, s4
	s_and_b32 s82, s84, vcc_lo
	s_and_b32 s3, s85, s3
	s_and_b32 s83, s86, s1
	;; [unrolled: 1-line block ×6, first 2 shown]
	s_mov_b32 s0, 0
	s_clause 0x4
	scratch_store_b64 off, v[36:37], off offset:88
	scratch_store_b64 off, v[22:23], off offset:96
	;; [unrolled: 1-line block ×5, first 2 shown]
	s_branch .LBB14_7
.LBB14_6:                               ;   in Loop: Header=BB14_7 Depth=2
	s_wait_xcnt 0x0
	s_or_b32 exec_lo, exec_lo, s83
	s_wait_loadcnt 0x1a
	v_fmac_f64_e32 v[52:53], v[66:67], v[68:69]
	v_dual_add_nc_u32 v54, 1, v54 :: v_dual_add_nc_u32 v64, s31, v64
	v_add_nc_u64_e32 v[8:9], 0xd8, v[8:9]
	s_delay_alu instid0(VALU_DEP_2) | instskip(SKIP_2) | instid1(VALU_DEP_4)
	v_cmp_ge_i32_e32 vcc_lo, v54, v55
	s_or_b32 s0, vcc_lo, s0
	s_wait_loadcnt 0x19
	v_fmac_f64_e32 v[52:53], v[72:73], v[76:77]
	s_wait_loadcnt 0x18
	s_delay_alu instid0(VALU_DEP_1) | instskip(SKIP_1) | instid1(VALU_DEP_1)
	v_fmac_f64_e32 v[52:53], v[78:79], v[74:75]
	s_wait_loadcnt 0x17
	v_fmac_f64_e32 v[52:53], v[80:81], v[84:85]
	s_wait_loadcnt 0x16
	s_delay_alu instid0(VALU_DEP_1) | instskip(SKIP_1) | instid1(VALU_DEP_1)
	v_fmac_f64_e32 v[52:53], v[86:87], v[82:83]
	;; [unrolled: 5-line block ×12, first 2 shown]
	s_wait_loadcnt 0x1
	v_fmac_f64_e32 v[52:53], v[44:45], v[48:49]
	s_wait_loadcnt 0x0
	s_delay_alu instid0(VALU_DEP_1)
	v_fmac_f64_e32 v[52:53], v[50:51], v[46:47]
	s_and_not1_b32 exec_lo, exec_lo, s0
	s_cbranch_execz .LBB14_2
.LBB14_7:                               ;   Parent Loop BB14_4 Depth=1
                                        ; =>  This Inner Loop Header: Depth=2
	global_load_b64 v[66:67], v[8:9], off
	v_ashrrev_i32_e32 v65, 31, v64
	v_mov_b64_e32 v[68:69], 0
	s_delay_alu instid0(VALU_DEP_2)
	v_lshl_add_u64 v[70:71], v[64:65], 3, v[6:7]
	s_wait_xcnt 0x0
	s_and_saveexec_b32 s83, s60
	s_cbranch_execz .LBB14_9
; %bb.8:                                ;   in Loop: Header=BB14_7 Depth=2
	scratch_load_b64 v[0:1], off, off       ; 8-byte Folded Reload
	s_wait_loadcnt 0x0
	v_lshl_add_u64 v[0:1], v[0:1], 3, v[70:71]
	global_load_b64 v[68:69], v[0:1], off
.LBB14_9:                               ;   in Loop: Header=BB14_7 Depth=2
	s_wait_xcnt 0x0
	s_or_b32 exec_lo, exec_lo, s83
	global_load_b64 v[72:73], v[8:9], off offset:8
	v_mov_b64_e32 v[74:75], 0
	v_mov_b64_e32 v[76:77], 0
	s_wait_xcnt 0x0
	s_and_saveexec_b32 s83, s61
	s_cbranch_execz .LBB14_11
; %bb.10:                               ;   in Loop: Header=BB14_7 Depth=2
	scratch_load_b64 v[0:1], off, off offset:8 ; 8-byte Folded Reload
	s_wait_loadcnt 0x0
	v_lshl_add_u64 v[0:1], v[0:1], 3, v[70:71]
	global_load_b64 v[76:77], v[0:1], off
.LBB14_11:                              ;   in Loop: Header=BB14_7 Depth=2
	s_wait_xcnt 0x0
	s_or_b32 exec_lo, exec_lo, s83
	global_load_b64 v[78:79], v[8:9], off offset:16
	s_wait_xcnt 0x0
	s_and_saveexec_b32 s83, s62
	s_cbranch_execz .LBB14_13
; %bb.12:                               ;   in Loop: Header=BB14_7 Depth=2
	scratch_load_b64 v[0:1], off, off offset:16 ; 8-byte Folded Reload
	s_wait_loadcnt 0x0
	v_lshl_add_u64 v[0:1], v[0:1], 3, v[70:71]
	global_load_b64 v[74:75], v[0:1], off
.LBB14_13:                              ;   in Loop: Header=BB14_7 Depth=2
	s_wait_xcnt 0x0
	s_or_b32 exec_lo, exec_lo, s83
	global_load_b64 v[80:81], v[8:9], off offset:24
	v_mov_b64_e32 v[82:83], 0
	v_mov_b64_e32 v[84:85], 0
	s_wait_xcnt 0x0
	s_and_saveexec_b32 s83, s63
	s_cbranch_execz .LBB14_15
; %bb.14:                               ;   in Loop: Header=BB14_7 Depth=2
	scratch_load_b64 v[0:1], off, off offset:24 ; 8-byte Folded Reload
	s_wait_loadcnt 0x0
	v_lshl_add_u64 v[0:1], v[0:1], 3, v[70:71]
	global_load_b64 v[84:85], v[0:1], off
.LBB14_15:                              ;   in Loop: Header=BB14_7 Depth=2
	s_wait_xcnt 0x0
	s_or_b32 exec_lo, exec_lo, s83
	global_load_b64 v[86:87], v[8:9], off offset:32
	s_wait_xcnt 0x0
	s_and_saveexec_b32 s83, s64
	s_cbranch_execz .LBB14_17
; %bb.16:                               ;   in Loop: Header=BB14_7 Depth=2
	scratch_load_b64 v[0:1], off, off offset:32 ; 8-byte Folded Reload
	s_wait_loadcnt 0x0
	v_lshl_add_u64 v[0:1], v[0:1], 3, v[70:71]
	global_load_b64 v[82:83], v[0:1], off
.LBB14_17:                              ;   in Loop: Header=BB14_7 Depth=2
	s_wait_xcnt 0x0
	s_or_b32 exec_lo, exec_lo, s83
	global_load_b64 v[88:89], v[8:9], off offset:40
	v_mov_b64_e32 v[90:91], 0
	v_mov_b64_e32 v[92:93], 0
	s_wait_xcnt 0x0
	s_and_saveexec_b32 s83, s65
	s_cbranch_execz .LBB14_19
; %bb.18:                               ;   in Loop: Header=BB14_7 Depth=2
	scratch_load_b64 v[0:1], off, off offset:40 ; 8-byte Folded Reload
	s_wait_loadcnt 0x0
	v_lshl_add_u64 v[0:1], v[0:1], 3, v[70:71]
	global_load_b64 v[92:93], v[0:1], off
.LBB14_19:                              ;   in Loop: Header=BB14_7 Depth=2
	s_wait_xcnt 0x0
	s_or_b32 exec_lo, exec_lo, s83
	global_load_b64 v[94:95], v[8:9], off offset:48
	s_wait_xcnt 0x0
	s_and_saveexec_b32 s83, s66
	s_cbranch_execz .LBB14_21
; %bb.20:                               ;   in Loop: Header=BB14_7 Depth=2
	scratch_load_b64 v[0:1], off, off offset:48 ; 8-byte Folded Reload
	s_wait_loadcnt 0x0
	v_lshl_add_u64 v[0:1], v[0:1], 3, v[70:71]
	global_load_b64 v[90:91], v[0:1], off
.LBB14_21:                              ;   in Loop: Header=BB14_7 Depth=2
	s_wait_xcnt 0x0
	s_or_b32 exec_lo, exec_lo, s83
	global_load_b64 v[96:97], v[8:9], off offset:56
	v_mov_b64_e32 v[98:99], 0
	v_mov_b64_e32 v[100:101], 0
	s_wait_xcnt 0x0
	s_and_saveexec_b32 s83, s67
	s_cbranch_execz .LBB14_23
; %bb.22:                               ;   in Loop: Header=BB14_7 Depth=2
	scratch_load_b64 v[0:1], off, off offset:56 ; 8-byte Folded Reload
	s_wait_loadcnt 0x0
	v_lshl_add_u64 v[0:1], v[0:1], 3, v[70:71]
	global_load_b64 v[100:101], v[0:1], off
.LBB14_23:                              ;   in Loop: Header=BB14_7 Depth=2
	s_wait_xcnt 0x0
	s_or_b32 exec_lo, exec_lo, s83
	global_load_b64 v[102:103], v[8:9], off offset:64
	s_wait_xcnt 0x0
	s_and_saveexec_b32 s83, s68
	s_cbranch_execz .LBB14_25
; %bb.24:                               ;   in Loop: Header=BB14_7 Depth=2
	scratch_load_b64 v[0:1], off, off offset:64 ; 8-byte Folded Reload
	s_wait_loadcnt 0x0
	v_lshl_add_u64 v[0:1], v[0:1], 3, v[70:71]
	global_load_b64 v[98:99], v[0:1], off
.LBB14_25:                              ;   in Loop: Header=BB14_7 Depth=2
	s_wait_xcnt 0x0
	s_or_b32 exec_lo, exec_lo, s83
	global_load_b64 v[104:105], v[8:9], off offset:72
	v_mov_b64_e32 v[106:107], 0
	v_mov_b64_e32 v[108:109], 0
	s_wait_xcnt 0x0
	s_and_saveexec_b32 s83, s69
	s_cbranch_execz .LBB14_27
; %bb.26:                               ;   in Loop: Header=BB14_7 Depth=2
	scratch_load_b64 v[0:1], off, off offset:72 ; 8-byte Folded Reload
	s_wait_loadcnt 0x0
	v_lshl_add_u64 v[0:1], v[0:1], 3, v[70:71]
	global_load_b64 v[108:109], v[0:1], off
.LBB14_27:                              ;   in Loop: Header=BB14_7 Depth=2
	s_wait_xcnt 0x0
	s_or_b32 exec_lo, exec_lo, s83
	global_load_b64 v[110:111], v[8:9], off offset:80
	s_wait_xcnt 0x0
	s_and_saveexec_b32 s83, s70
	s_cbranch_execz .LBB14_29
; %bb.28:                               ;   in Loop: Header=BB14_7 Depth=2
	scratch_load_b64 v[0:1], off, off offset:80 ; 8-byte Folded Reload
	s_wait_loadcnt 0x0
	v_lshl_add_u64 v[0:1], v[0:1], 3, v[70:71]
	global_load_b64 v[106:107], v[0:1], off
.LBB14_29:                              ;   in Loop: Header=BB14_7 Depth=2
	s_wait_xcnt 0x0
	s_or_b32 exec_lo, exec_lo, s83
	global_load_b64 v[112:113], v[8:9], off offset:88
	v_mov_b64_e32 v[114:115], 0
	v_mov_b64_e32 v[116:117], 0
	s_wait_xcnt 0x0
	s_and_saveexec_b32 s83, s71
	s_cbranch_execz .LBB14_31
; %bb.30:                               ;   in Loop: Header=BB14_7 Depth=2
	scratch_load_b64 v[0:1], off, off offset:88 ; 8-byte Folded Reload
	s_wait_loadcnt 0x0
	v_lshl_add_u64 v[0:1], v[0:1], 3, v[70:71]
	global_load_b64 v[116:117], v[0:1], off
.LBB14_31:                              ;   in Loop: Header=BB14_7 Depth=2
	s_wait_xcnt 0x0
	s_or_b32 exec_lo, exec_lo, s83
	global_load_b64 v[118:119], v[8:9], off offset:96
	s_wait_xcnt 0x0
	s_and_saveexec_b32 s83, s72
	s_cbranch_execz .LBB14_33
; %bb.32:                               ;   in Loop: Header=BB14_7 Depth=2
	scratch_load_b64 v[0:1], off, off offset:96 ; 8-byte Folded Reload
	s_wait_loadcnt 0x0
	v_lshl_add_u64 v[0:1], v[0:1], 3, v[70:71]
	global_load_b64 v[114:115], v[0:1], off
.LBB14_33:                              ;   in Loop: Header=BB14_7 Depth=2
	s_wait_xcnt 0x0
	s_or_b32 exec_lo, exec_lo, s83
	global_load_b64 v[120:121], v[8:9], off offset:104
	v_mov_b64_e32 v[122:123], 0
	v_mov_b64_e32 v[124:125], 0
	s_wait_xcnt 0x0
	s_and_saveexec_b32 s83, s73
	s_cbranch_execz .LBB14_35
; %bb.34:                               ;   in Loop: Header=BB14_7 Depth=2
	scratch_load_b64 v[0:1], off, off offset:104 ; 8-byte Folded Reload
	s_wait_loadcnt 0x0
	v_lshl_add_u64 v[0:1], v[0:1], 3, v[70:71]
	global_load_b64 v[124:125], v[0:1], off
.LBB14_35:                              ;   in Loop: Header=BB14_7 Depth=2
	s_wait_xcnt 0x0
	s_or_b32 exec_lo, exec_lo, s83
	global_load_b64 v[126:127], v[8:9], off offset:112
	s_wait_xcnt 0x0
	s_and_saveexec_b32 s83, s74
	s_cbranch_execz .LBB14_37
; %bb.36:                               ;   in Loop: Header=BB14_7 Depth=2
	scratch_load_b64 v[0:1], off, off offset:112 ; 8-byte Folded Reload
	s_wait_loadcnt 0x0
	v_lshl_add_u64 v[0:1], v[0:1], 3, v[70:71]
	global_load_b64 v[122:123], v[0:1], off
.LBB14_37:                              ;   in Loop: Header=BB14_7 Depth=2
	s_wait_xcnt 0x0
	s_or_b32 exec_lo, exec_lo, s83
	global_load_b64 v[2:3], v[8:9], off offset:120
	v_mov_b64_e32 v[4:5], 0
	v_mov_b64_e32 v[0:1], 0
	s_wait_xcnt 0x0
	s_and_saveexec_b32 s83, s75
	s_cbranch_execz .LBB14_39
; %bb.38:                               ;   in Loop: Header=BB14_7 Depth=2
	scratch_load_b64 v[0:1], off, off offset:120 ; 8-byte Folded Reload
	s_wait_loadcnt 0x0
	v_lshl_add_u64 v[0:1], v[0:1], 3, v[70:71]
	global_load_b64 v[0:1], v[0:1], off
.LBB14_39:                              ;   in Loop: Header=BB14_7 Depth=2
	s_wait_xcnt 0x0
	s_or_b32 exec_lo, exec_lo, s83
	global_load_b64 v[10:11], v[8:9], off offset:128
	s_wait_xcnt 0x0
	s_and_saveexec_b32 s83, s76
	s_cbranch_execz .LBB14_41
; %bb.40:                               ;   in Loop: Header=BB14_7 Depth=2
	scratch_load_b64 v[4:5], off, off offset:128 ; 8-byte Folded Reload
	s_wait_loadcnt 0x0
	v_lshl_add_u64 v[4:5], v[4:5], 3, v[70:71]
	global_load_b64 v[4:5], v[4:5], off
.LBB14_41:                              ;   in Loop: Header=BB14_7 Depth=2
	s_wait_xcnt 0x0
	s_or_b32 exec_lo, exec_lo, s83
	global_load_b64 v[12:13], v[8:9], off offset:136
	v_mov_b64_e32 v[14:15], 0
	v_mov_b64_e32 v[16:17], 0
	s_wait_xcnt 0x0
	s_and_saveexec_b32 s83, s77
	s_cbranch_execz .LBB14_43
; %bb.42:                               ;   in Loop: Header=BB14_7 Depth=2
	scratch_load_b64 v[16:17], off, off offset:136 ; 8-byte Folded Reload
	s_wait_loadcnt 0x0
	v_lshl_add_u64 v[16:17], v[16:17], 3, v[70:71]
	global_load_b64 v[16:17], v[16:17], off
.LBB14_43:                              ;   in Loop: Header=BB14_7 Depth=2
	s_wait_xcnt 0x0
	s_or_b32 exec_lo, exec_lo, s83
	global_load_b64 v[18:19], v[8:9], off offset:144
	s_wait_xcnt 0x0
	s_and_saveexec_b32 s83, s78
	s_cbranch_execz .LBB14_45
; %bb.44:                               ;   in Loop: Header=BB14_7 Depth=2
	scratch_load_b64 v[14:15], off, off offset:144 ; 8-byte Folded Reload
	s_wait_loadcnt 0x0
	v_lshl_add_u64 v[14:15], v[14:15], 3, v[70:71]
	global_load_b64 v[14:15], v[14:15], off
.LBB14_45:                              ;   in Loop: Header=BB14_7 Depth=2
	s_wait_xcnt 0x0
	s_or_b32 exec_lo, exec_lo, s83
	global_load_b64 v[20:21], v[8:9], off offset:152
	v_mov_b64_e32 v[22:23], 0
	v_mov_b64_e32 v[24:25], 0
	s_wait_xcnt 0x0
	s_and_saveexec_b32 s83, s79
	s_cbranch_execz .LBB14_47
; %bb.46:                               ;   in Loop: Header=BB14_7 Depth=2
	scratch_load_b64 v[24:25], off, off offset:152 ; 8-byte Folded Reload
	s_wait_loadcnt 0x0
	v_lshl_add_u64 v[24:25], v[24:25], 3, v[70:71]
	global_load_b64 v[24:25], v[24:25], off
.LBB14_47:                              ;   in Loop: Header=BB14_7 Depth=2
	s_wait_xcnt 0x0
	s_or_b32 exec_lo, exec_lo, s83
	global_load_b64 v[26:27], v[8:9], off offset:160
	s_wait_xcnt 0x0
	s_and_saveexec_b32 s83, s80
	s_cbranch_execz .LBB14_49
; %bb.48:                               ;   in Loop: Header=BB14_7 Depth=2
	scratch_load_b64 v[22:23], off, off offset:160 ; 8-byte Folded Reload
	s_wait_loadcnt 0x0
	v_lshl_add_u64 v[22:23], v[22:23], 3, v[70:71]
	global_load_b64 v[22:23], v[22:23], off
.LBB14_49:                              ;   in Loop: Header=BB14_7 Depth=2
	s_wait_xcnt 0x0
	s_or_b32 exec_lo, exec_lo, s83
	global_load_b64 v[28:29], v[8:9], off offset:168
	v_mov_b64_e32 v[30:31], 0
	v_mov_b64_e32 v[32:33], 0
	s_wait_xcnt 0x0
	s_and_saveexec_b32 s83, s81
	s_cbranch_execz .LBB14_51
; %bb.50:                               ;   in Loop: Header=BB14_7 Depth=2
	scratch_load_b64 v[32:33], off, off offset:168 ; 8-byte Folded Reload
	s_wait_loadcnt 0x0
	v_lshl_add_u64 v[32:33], v[32:33], 3, v[70:71]
	global_load_b64 v[32:33], v[32:33], off
.LBB14_51:                              ;   in Loop: Header=BB14_7 Depth=2
	s_wait_xcnt 0x0
	s_or_b32 exec_lo, exec_lo, s83
	global_load_b64 v[34:35], v[8:9], off offset:176
	s_wait_xcnt 0x0
	s_and_saveexec_b32 s83, s2
	s_cbranch_execz .LBB14_53
; %bb.52:                               ;   in Loop: Header=BB14_7 Depth=2
	scratch_load_b64 v[30:31], off, off offset:176 ; 8-byte Folded Reload
	s_wait_loadcnt 0x0
	v_lshl_add_u64 v[30:31], v[30:31], 3, v[70:71]
	global_load_b64 v[30:31], v[30:31], off
.LBB14_53:                              ;   in Loop: Header=BB14_7 Depth=2
	s_wait_xcnt 0x0
	s_or_b32 exec_lo, exec_lo, s83
	global_load_b64 v[36:37], v[8:9], off offset:184
	v_mov_b64_e32 v[38:39], 0
	v_mov_b64_e32 v[40:41], 0
	s_wait_xcnt 0x0
	s_and_saveexec_b32 s83, s4
	s_cbranch_execz .LBB14_55
; %bb.54:                               ;   in Loop: Header=BB14_7 Depth=2
	v_lshl_add_u64 v[40:41], v[56:57], 3, v[70:71]
	global_load_b64 v[40:41], v[40:41], off
.LBB14_55:                              ;   in Loop: Header=BB14_7 Depth=2
	s_wait_xcnt 0x0
	s_or_b32 exec_lo, exec_lo, s83
	global_load_b64 v[42:43], v[8:9], off offset:192
	s_wait_xcnt 0x0
	s_and_saveexec_b32 s83, s82
	s_cbranch_execz .LBB14_57
; %bb.56:                               ;   in Loop: Header=BB14_7 Depth=2
	v_lshl_add_u64 v[38:39], v[58:59], 3, v[70:71]
	global_load_b64 v[38:39], v[38:39], off
.LBB14_57:                              ;   in Loop: Header=BB14_7 Depth=2
	s_wait_xcnt 0x0
	s_or_b32 exec_lo, exec_lo, s83
	global_load_b64 v[44:45], v[8:9], off offset:200
	v_mov_b64_e32 v[46:47], 0
	v_mov_b64_e32 v[48:49], 0
	s_wait_xcnt 0x0
	s_and_saveexec_b32 s83, s1
	s_cbranch_execz .LBB14_59
; %bb.58:                               ;   in Loop: Header=BB14_7 Depth=2
	v_lshl_add_u64 v[48:49], v[60:61], 3, v[70:71]
	global_load_b64 v[48:49], v[48:49], off
.LBB14_59:                              ;   in Loop: Header=BB14_7 Depth=2
	s_wait_xcnt 0x0
	s_or_b32 exec_lo, exec_lo, s83
	global_load_b64 v[50:51], v[8:9], off offset:208
	s_wait_xcnt 0x0
	s_and_saveexec_b32 s83, s3
	s_cbranch_execz .LBB14_6
; %bb.60:                               ;   in Loop: Header=BB14_7 Depth=2
	v_lshl_add_u64 v[46:47], v[62:63], 3, v[70:71]
	global_load_b64 v[46:47], v[46:47], off
	s_branch .LBB14_6
.LBB14_61:                              ;   in Loop: Header=BB14_4 Depth=1
	v_mov_b64_e32 v[52:53], 0
	s_branch .LBB14_3
.LBB14_62:
	s_sendmsg sendmsg(MSG_DEALLOC_VGPRS)
	s_endpgm
	.section	.rodata,"a",@progbits
	.p2align	6, 0x0
	.amdhsa_kernel _ZN2at6native12_GLOBAL__N_143conv_depthwise3d_cuda_backward_input_kernelIddLi3ELi3ELi3ELin1ELin1ELin1ELi1ELi1ELi1EEEvN5torch10headeronly6detail27GenericPackedTensorAccessorINS5_14TensorAccessorIN3c108ArrayRefIlEEKT_Lm4ENS4_16DefaultPtrTraitsEiEENS_6detail16IndexBoundsCheckILm5EiEESC_Lm5ESD_iEENS6_INS7_ISA_SB_Lm4ESD_iEESH_SB_Lm5ESD_iEESI_iiiiiiiii
		.amdhsa_group_segment_fixed_size 0
		.amdhsa_private_segment_fixed_size 224
		.amdhsa_kernarg_size 440
		.amdhsa_user_sgpr_count 2
		.amdhsa_user_sgpr_dispatch_ptr 0
		.amdhsa_user_sgpr_queue_ptr 0
		.amdhsa_user_sgpr_kernarg_segment_ptr 1
		.amdhsa_user_sgpr_dispatch_id 0
		.amdhsa_user_sgpr_kernarg_preload_length 0
		.amdhsa_user_sgpr_kernarg_preload_offset 0
		.amdhsa_user_sgpr_private_segment_size 0
		.amdhsa_wavefront_size32 1
		.amdhsa_uses_dynamic_stack 0
		.amdhsa_enable_private_segment 1
		.amdhsa_system_sgpr_workgroup_id_x 1
		.amdhsa_system_sgpr_workgroup_id_y 0
		.amdhsa_system_sgpr_workgroup_id_z 0
		.amdhsa_system_sgpr_workgroup_info 0
		.amdhsa_system_vgpr_workitem_id 0
		.amdhsa_next_free_vgpr 128
		.amdhsa_next_free_sgpr 87
		.amdhsa_named_barrier_count 0
		.amdhsa_reserve_vcc 1
		.amdhsa_float_round_mode_32 0
		.amdhsa_float_round_mode_16_64 0
		.amdhsa_float_denorm_mode_32 3
		.amdhsa_float_denorm_mode_16_64 3
		.amdhsa_fp16_overflow 0
		.amdhsa_memory_ordered 1
		.amdhsa_forward_progress 1
		.amdhsa_inst_pref_size 42
		.amdhsa_round_robin_scheduling 0
		.amdhsa_exception_fp_ieee_invalid_op 0
		.amdhsa_exception_fp_denorm_src 0
		.amdhsa_exception_fp_ieee_div_zero 0
		.amdhsa_exception_fp_ieee_overflow 0
		.amdhsa_exception_fp_ieee_underflow 0
		.amdhsa_exception_fp_ieee_inexact 0
		.amdhsa_exception_int_div_zero 0
	.end_amdhsa_kernel
	.section	.text._ZN2at6native12_GLOBAL__N_143conv_depthwise3d_cuda_backward_input_kernelIddLi3ELi3ELi3ELin1ELin1ELin1ELi1ELi1ELi1EEEvN5torch10headeronly6detail27GenericPackedTensorAccessorINS5_14TensorAccessorIN3c108ArrayRefIlEEKT_Lm4ENS4_16DefaultPtrTraitsEiEENS_6detail16IndexBoundsCheckILm5EiEESC_Lm5ESD_iEENS6_INS7_ISA_SB_Lm4ESD_iEESH_SB_Lm5ESD_iEESI_iiiiiiiii,"axG",@progbits,_ZN2at6native12_GLOBAL__N_143conv_depthwise3d_cuda_backward_input_kernelIddLi3ELi3ELi3ELin1ELin1ELin1ELi1ELi1ELi1EEEvN5torch10headeronly6detail27GenericPackedTensorAccessorINS5_14TensorAccessorIN3c108ArrayRefIlEEKT_Lm4ENS4_16DefaultPtrTraitsEiEENS_6detail16IndexBoundsCheckILm5EiEESC_Lm5ESD_iEENS6_INS7_ISA_SB_Lm4ESD_iEESH_SB_Lm5ESD_iEESI_iiiiiiiii,comdat
.Lfunc_end14:
	.size	_ZN2at6native12_GLOBAL__N_143conv_depthwise3d_cuda_backward_input_kernelIddLi3ELi3ELi3ELin1ELin1ELin1ELi1ELi1ELi1EEEvN5torch10headeronly6detail27GenericPackedTensorAccessorINS5_14TensorAccessorIN3c108ArrayRefIlEEKT_Lm4ENS4_16DefaultPtrTraitsEiEENS_6detail16IndexBoundsCheckILm5EiEESC_Lm5ESD_iEENS6_INS7_ISA_SB_Lm4ESD_iEESH_SB_Lm5ESD_iEESI_iiiiiiiii, .Lfunc_end14-_ZN2at6native12_GLOBAL__N_143conv_depthwise3d_cuda_backward_input_kernelIddLi3ELi3ELi3ELin1ELin1ELin1ELi1ELi1ELi1EEEvN5torch10headeronly6detail27GenericPackedTensorAccessorINS5_14TensorAccessorIN3c108ArrayRefIlEEKT_Lm4ENS4_16DefaultPtrTraitsEiEENS_6detail16IndexBoundsCheckILm5EiEESC_Lm5ESD_iEENS6_INS7_ISA_SB_Lm4ESD_iEESH_SB_Lm5ESD_iEESI_iiiiiiiii
                                        ; -- End function
	.set _ZN2at6native12_GLOBAL__N_143conv_depthwise3d_cuda_backward_input_kernelIddLi3ELi3ELi3ELin1ELin1ELin1ELi1ELi1ELi1EEEvN5torch10headeronly6detail27GenericPackedTensorAccessorINS5_14TensorAccessorIN3c108ArrayRefIlEEKT_Lm4ENS4_16DefaultPtrTraitsEiEENS_6detail16IndexBoundsCheckILm5EiEESC_Lm5ESD_iEENS6_INS7_ISA_SB_Lm4ESD_iEESH_SB_Lm5ESD_iEESI_iiiiiiiii.num_vgpr, 128
	.set _ZN2at6native12_GLOBAL__N_143conv_depthwise3d_cuda_backward_input_kernelIddLi3ELi3ELi3ELin1ELin1ELin1ELi1ELi1ELi1EEEvN5torch10headeronly6detail27GenericPackedTensorAccessorINS5_14TensorAccessorIN3c108ArrayRefIlEEKT_Lm4ENS4_16DefaultPtrTraitsEiEENS_6detail16IndexBoundsCheckILm5EiEESC_Lm5ESD_iEENS6_INS7_ISA_SB_Lm4ESD_iEESH_SB_Lm5ESD_iEESI_iiiiiiiii.num_agpr, 0
	.set _ZN2at6native12_GLOBAL__N_143conv_depthwise3d_cuda_backward_input_kernelIddLi3ELi3ELi3ELin1ELin1ELin1ELi1ELi1ELi1EEEvN5torch10headeronly6detail27GenericPackedTensorAccessorINS5_14TensorAccessorIN3c108ArrayRefIlEEKT_Lm4ENS4_16DefaultPtrTraitsEiEENS_6detail16IndexBoundsCheckILm5EiEESC_Lm5ESD_iEENS6_INS7_ISA_SB_Lm4ESD_iEESH_SB_Lm5ESD_iEESI_iiiiiiiii.numbered_sgpr, 87
	.set _ZN2at6native12_GLOBAL__N_143conv_depthwise3d_cuda_backward_input_kernelIddLi3ELi3ELi3ELin1ELin1ELin1ELi1ELi1ELi1EEEvN5torch10headeronly6detail27GenericPackedTensorAccessorINS5_14TensorAccessorIN3c108ArrayRefIlEEKT_Lm4ENS4_16DefaultPtrTraitsEiEENS_6detail16IndexBoundsCheckILm5EiEESC_Lm5ESD_iEENS6_INS7_ISA_SB_Lm4ESD_iEESH_SB_Lm5ESD_iEESI_iiiiiiiii.num_named_barrier, 0
	.set _ZN2at6native12_GLOBAL__N_143conv_depthwise3d_cuda_backward_input_kernelIddLi3ELi3ELi3ELin1ELin1ELin1ELi1ELi1ELi1EEEvN5torch10headeronly6detail27GenericPackedTensorAccessorINS5_14TensorAccessorIN3c108ArrayRefIlEEKT_Lm4ENS4_16DefaultPtrTraitsEiEENS_6detail16IndexBoundsCheckILm5EiEESC_Lm5ESD_iEENS6_INS7_ISA_SB_Lm4ESD_iEESH_SB_Lm5ESD_iEESI_iiiiiiiii.private_seg_size, 224
	.set _ZN2at6native12_GLOBAL__N_143conv_depthwise3d_cuda_backward_input_kernelIddLi3ELi3ELi3ELin1ELin1ELin1ELi1ELi1ELi1EEEvN5torch10headeronly6detail27GenericPackedTensorAccessorINS5_14TensorAccessorIN3c108ArrayRefIlEEKT_Lm4ENS4_16DefaultPtrTraitsEiEENS_6detail16IndexBoundsCheckILm5EiEESC_Lm5ESD_iEENS6_INS7_ISA_SB_Lm4ESD_iEESH_SB_Lm5ESD_iEESI_iiiiiiiii.uses_vcc, 1
	.set _ZN2at6native12_GLOBAL__N_143conv_depthwise3d_cuda_backward_input_kernelIddLi3ELi3ELi3ELin1ELin1ELin1ELi1ELi1ELi1EEEvN5torch10headeronly6detail27GenericPackedTensorAccessorINS5_14TensorAccessorIN3c108ArrayRefIlEEKT_Lm4ENS4_16DefaultPtrTraitsEiEENS_6detail16IndexBoundsCheckILm5EiEESC_Lm5ESD_iEENS6_INS7_ISA_SB_Lm4ESD_iEESH_SB_Lm5ESD_iEESI_iiiiiiiii.uses_flat_scratch, 1
	.set _ZN2at6native12_GLOBAL__N_143conv_depthwise3d_cuda_backward_input_kernelIddLi3ELi3ELi3ELin1ELin1ELin1ELi1ELi1ELi1EEEvN5torch10headeronly6detail27GenericPackedTensorAccessorINS5_14TensorAccessorIN3c108ArrayRefIlEEKT_Lm4ENS4_16DefaultPtrTraitsEiEENS_6detail16IndexBoundsCheckILm5EiEESC_Lm5ESD_iEENS6_INS7_ISA_SB_Lm4ESD_iEESH_SB_Lm5ESD_iEESI_iiiiiiiii.has_dyn_sized_stack, 0
	.set _ZN2at6native12_GLOBAL__N_143conv_depthwise3d_cuda_backward_input_kernelIddLi3ELi3ELi3ELin1ELin1ELin1ELi1ELi1ELi1EEEvN5torch10headeronly6detail27GenericPackedTensorAccessorINS5_14TensorAccessorIN3c108ArrayRefIlEEKT_Lm4ENS4_16DefaultPtrTraitsEiEENS_6detail16IndexBoundsCheckILm5EiEESC_Lm5ESD_iEENS6_INS7_ISA_SB_Lm4ESD_iEESH_SB_Lm5ESD_iEESI_iiiiiiiii.has_recursion, 0
	.set _ZN2at6native12_GLOBAL__N_143conv_depthwise3d_cuda_backward_input_kernelIddLi3ELi3ELi3ELin1ELin1ELin1ELi1ELi1ELi1EEEvN5torch10headeronly6detail27GenericPackedTensorAccessorINS5_14TensorAccessorIN3c108ArrayRefIlEEKT_Lm4ENS4_16DefaultPtrTraitsEiEENS_6detail16IndexBoundsCheckILm5EiEESC_Lm5ESD_iEENS6_INS7_ISA_SB_Lm4ESD_iEESH_SB_Lm5ESD_iEESI_iiiiiiiii.has_indirect_call, 0
	.section	.AMDGPU.csdata,"",@progbits
; Kernel info:
; codeLenInByte = 5276
; TotalNumSgprs: 89
; NumVgprs: 128
; ScratchSize: 224
; MemoryBound: 0
; FloatMode: 240
; IeeeMode: 1
; LDSByteSize: 0 bytes/workgroup (compile time only)
; SGPRBlocks: 0
; VGPRBlocks: 7
; NumSGPRsForWavesPerEU: 89
; NumVGPRsForWavesPerEU: 128
; NamedBarCnt: 0
; Occupancy: 8
; WaveLimiterHint : 0
; COMPUTE_PGM_RSRC2:SCRATCH_EN: 1
; COMPUTE_PGM_RSRC2:USER_SGPR: 2
; COMPUTE_PGM_RSRC2:TRAP_HANDLER: 0
; COMPUTE_PGM_RSRC2:TGID_X_EN: 1
; COMPUTE_PGM_RSRC2:TGID_Y_EN: 0
; COMPUTE_PGM_RSRC2:TGID_Z_EN: 0
; COMPUTE_PGM_RSRC2:TIDIG_COMP_CNT: 0
	.section	.text._ZN2at6native12_GLOBAL__N_143conv_depthwise3d_cuda_backward_input_kernelIddLi3ELi3ELi3ELin1ELin1ELin1ELin1ELin1ELin1EEEvN5torch10headeronly6detail27GenericPackedTensorAccessorINS5_14TensorAccessorIN3c108ArrayRefIlEEKT_Lm4ENS4_16DefaultPtrTraitsEiEENS_6detail16IndexBoundsCheckILm5EiEESC_Lm5ESD_iEENS6_INS7_ISA_SB_Lm4ESD_iEESH_SB_Lm5ESD_iEESI_iiiiiiiii,"axG",@progbits,_ZN2at6native12_GLOBAL__N_143conv_depthwise3d_cuda_backward_input_kernelIddLi3ELi3ELi3ELin1ELin1ELin1ELin1ELin1ELin1EEEvN5torch10headeronly6detail27GenericPackedTensorAccessorINS5_14TensorAccessorIN3c108ArrayRefIlEEKT_Lm4ENS4_16DefaultPtrTraitsEiEENS_6detail16IndexBoundsCheckILm5EiEESC_Lm5ESD_iEENS6_INS7_ISA_SB_Lm4ESD_iEESH_SB_Lm5ESD_iEESI_iiiiiiiii,comdat
	.globl	_ZN2at6native12_GLOBAL__N_143conv_depthwise3d_cuda_backward_input_kernelIddLi3ELi3ELi3ELin1ELin1ELin1ELin1ELin1ELin1EEEvN5torch10headeronly6detail27GenericPackedTensorAccessorINS5_14TensorAccessorIN3c108ArrayRefIlEEKT_Lm4ENS4_16DefaultPtrTraitsEiEENS_6detail16IndexBoundsCheckILm5EiEESC_Lm5ESD_iEENS6_INS7_ISA_SB_Lm4ESD_iEESH_SB_Lm5ESD_iEESI_iiiiiiiii ; -- Begin function _ZN2at6native12_GLOBAL__N_143conv_depthwise3d_cuda_backward_input_kernelIddLi3ELi3ELi3ELin1ELin1ELin1ELin1ELin1ELin1EEEvN5torch10headeronly6detail27GenericPackedTensorAccessorINS5_14TensorAccessorIN3c108ArrayRefIlEEKT_Lm4ENS4_16DefaultPtrTraitsEiEENS_6detail16IndexBoundsCheckILm5EiEESC_Lm5ESD_iEENS6_INS7_ISA_SB_Lm4ESD_iEESH_SB_Lm5ESD_iEESI_iiiiiiiii
	.p2align	8
	.type	_ZN2at6native12_GLOBAL__N_143conv_depthwise3d_cuda_backward_input_kernelIddLi3ELi3ELi3ELin1ELin1ELin1ELin1ELin1ELin1EEEvN5torch10headeronly6detail27GenericPackedTensorAccessorINS5_14TensorAccessorIN3c108ArrayRefIlEEKT_Lm4ENS4_16DefaultPtrTraitsEiEENS_6detail16IndexBoundsCheckILm5EiEESC_Lm5ESD_iEENS6_INS7_ISA_SB_Lm4ESD_iEESH_SB_Lm5ESD_iEESI_iiiiiiiii,@function
_ZN2at6native12_GLOBAL__N_143conv_depthwise3d_cuda_backward_input_kernelIddLi3ELi3ELi3ELin1ELin1ELin1ELin1ELin1ELin1EEEvN5torch10headeronly6detail27GenericPackedTensorAccessorINS5_14TensorAccessorIN3c108ArrayRefIlEEKT_Lm4ENS4_16DefaultPtrTraitsEiEENS_6detail16IndexBoundsCheckILm5EiEESC_Lm5ESD_iEENS6_INS7_ISA_SB_Lm4ESD_iEESH_SB_Lm5ESD_iEESI_iiiiiiiii: ; @_ZN2at6native12_GLOBAL__N_143conv_depthwise3d_cuda_backward_input_kernelIddLi3ELi3ELi3ELin1ELin1ELin1ELin1ELin1ELin1EEEvN5torch10headeronly6detail27GenericPackedTensorAccessorINS5_14TensorAccessorIN3c108ArrayRefIlEEKT_Lm4ENS4_16DefaultPtrTraitsEiEENS_6detail16IndexBoundsCheckILm5EiEESC_Lm5ESD_iEENS6_INS7_ISA_SB_Lm4ESD_iEESH_SB_Lm5ESD_iEESI_iiiiiiiii
; %bb.0:
	s_clause 0x2
	s_load_b128 s[44:47], s[0:1], 0x38
	s_load_b32 s2, s[0:1], 0xc4
	s_load_b64 s[34:35], s[0:1], 0x48
	s_bfe_u32 s3, ttmp6, 0x4000c
	s_and_b32 s4, ttmp6, 15
	s_add_co_i32 s3, s3, 1
	s_getreg_b32 s5, hwreg(HW_REG_IB_STS2, 6, 4)
	s_mul_i32 s3, ttmp9, s3
	v_dual_mov_b32 v42, v0 :: v_dual_mov_b32 v43, 0
	s_add_co_i32 s4, s4, s3
                                        ; implicit-def: $vgpr127 : SGPR spill to VGPR lane
	s_wait_kmcnt 0x0
	s_abs_i32 s31, s45
	s_and_b32 s2, s2, 0xffff
	s_cmp_eq_u32 s5, 0
	s_cselect_b32 s3, ttmp9, s4
	s_mul_i32 s4, s35, s44
	v_mad_nc_u64_u32 v[12:13], s2, s3, v[42:43]
	s_cvt_f32_u32 s3, s31
	s_ashr_i32 s5, s4, 31
	v_writelane_b32 v127, s4, 0
	s_delay_alu instid0(SALU_CYCLE_1) | instskip(SKIP_1) | instid1(VALU_DEP_3)
	v_rcp_iflag_f32_e32 v0, s3
	v_writelane_b32 v127, s5, 1
	v_cmp_gt_i64_e32 vcc_lo, s[4:5], v[12:13]
	s_delay_alu instid0(TRANS32_DEP_1)
	v_readfirstlane_b32 s3, v0
	s_and_saveexec_b32 s4, vcc_lo
	s_cbranch_execz .LBB15_62
; %bb.1:
	s_clause 0x1
	s_load_b128 s[48:51], s[0:1], 0xc
	s_load_b64 s[14:15], s[0:1], 0x0
	s_mul_f32 s3, s3, 0x4f7ffffe
	s_sub_co_i32 s8, 0, s31
	s_mov_b32 s11, 0
	s_add_nc_u64 s[6:7], s[0:1], 0xb8
	s_cvt_u32_f32 s3, s3
	s_mov_b32 s5, s11
	s_ashr_i32 s9, s45, 31
	s_load_b32 s12, s[0:1], 0xb0
	s_mul_i32 s4, s8, s3
	s_load_b256 s[36:43], s[0:1], 0x90
	s_mul_hi_u32 s4, s3, s4
                                        ; kill: killed $sgpr0_sgpr1
	s_mov_b32 s13, s11
	s_add_co_i32 s4, s3, s4
	s_load_b32 s3, s[6:7], 0x0
	s_mov_b32 s77, s11
	s_mov_b32 s79, s11
	;; [unrolled: 1-line block ×3, first 2 shown]
	s_load_b128 s[52:55], s[0:1], 0x50
	s_wait_kmcnt 0x0
	s_abs_i32 s10, s48
	v_writelane_b32 v127, s14, 2
	s_mul_u64 s[4:5], s[10:11], s[4:5]
	s_ashr_i32 s4, s48, 31
	s_mul_i32 s6, s5, s31
	s_xor_b32 s4, s4, s9
	s_sub_co_i32 s6, s10, s6
	s_load_b32 s10, s[0:1], 0x7c
	v_writelane_b32 v127, s15, 3
	s_clause 0x1
	s_load_b64 s[62:63], s[0:1], 0x1c
	s_load_b64 s[14:15], s[0:1], 0x30
	s_add_co_i32 s7, s5, 1
	v_writelane_b32 v127, s9, 4
	s_sub_co_i32 s9, s6, s31
	s_cmp_ge_u32 s6, s31
	s_cselect_b32 s5, s7, s5
	s_cselect_b32 s6, s9, s6
	s_add_co_i32 s7, s5, 1
	s_cmp_ge_u32 s6, s31
	s_cselect_b32 s5, s7, s5
	s_load_b64 s[6:7], s[0:1], 0x60
	s_wait_xcnt 0x0
	s_xor_b32 s0, s5, s4
	s_delay_alu instid0(SALU_CYCLE_1)
	s_sub_co_i32 s1, s0, s4
	s_wait_kmcnt 0x0
	v_writelane_b32 v127, s10, 5
	s_cmp_gt_i32 s1, 0
	v_readfirstlane_b32 s0, v0
	s_mul_i32 s10, s3, s2
	v_writelane_b32 v127, s14, 6
	s_mul_f32 s0, s0, 0x4f7ffffe
	v_writelane_b32 v127, s15, 7
	s_delay_alu instid0(SALU_CYCLE_2) | instskip(NEXT) | instid1(SALU_CYCLE_3)
	s_cvt_u32_f32 s0, s0
	s_mul_i32 s8, s8, s0
	v_writelane_b32 v127, s6, 8
	v_writelane_b32 v127, s7, 9
	;; [unrolled: 1-line block ×3, first 2 shown]
	s_cselect_b32 s1, -1, 0
	s_abs_i32 s86, s34
	s_abs_i32 s87, s47
	s_lshl_b32 s3, s42, 1
	v_writelane_b32 v127, s1, 11
	s_lshl_b32 s1, s12, 1
	s_cvt_f32_u32 s2, s87
	s_abs_i32 s88, s46
	s_sub_co_i32 s4, 0, s87
	v_writelane_b32 v127, s12, 12
	v_rcp_iflag_f32_e32 v1, s2
	s_abs_i32 s92, s36
	s_sub_co_i32 s6, 0, s88
	s_cvt_f32_u32 s7, s92
	v_writelane_b32 v127, s1, 13
	s_lshl_b32 s1, s43, 1
	s_abs_i32 s94, s37
	s_abs_i32 s95, s38
	s_ashr_i32 s98, s38, 31
	v_writelane_b32 v127, s1, 14
	s_cvt_f32_u32 s1, s86
	s_delay_alu instid0(SALU_CYCLE_3) | instskip(SKIP_4) | instid1(TRANS32_DEP_1)
	v_rcp_iflag_f32_e32 v0, s1
	v_writelane_b32 v127, s3, 15
	s_ashr_i32 s1, s34, 31
	s_cvt_f32_u32 s3, s88
	v_writelane_b32 v127, s1, 16
	v_readfirstlane_b32 s2, v0
	s_ashr_i32 s1, s47, 31
	v_rcp_iflag_f32_e32 v2, s3
	v_nop
	v_readfirstlane_b32 s3, v1
	v_writelane_b32 v127, s1, 17
	s_mul_f32 s2, s2, 0x4f7ffffe
	s_sub_co_i32 s1, 0, s86
	v_rcp_iflag_f32_e32 v0, s7
	s_mul_f32 s3, s3, 0x4f7ffffe
	s_cvt_u32_f32 s2, s2
	v_readfirstlane_b32 s5, v2
	s_mov_b32 s7, s11
	s_cvt_u32_f32 s3, s3
	s_mul_i32 s1, s1, s2
	s_delay_alu instid0(SALU_CYCLE_1) | instskip(NEXT) | instid1(SALU_CYCLE_1)
	s_mul_hi_u32 s1, s2, s1
	s_mul_i32 s4, s4, s3
	s_add_co_i32 s12, s2, s1
	s_mul_hi_u32 s4, s3, s4
	v_writelane_b32 v127, s12, 18
	s_add_co_i32 s2, s3, s4
	s_mov_b32 s3, s11
	s_mul_f32 s5, s5, 0x4f7ffffe
	s_ashr_i32 s1, s46, 31
	v_writelane_b32 v127, s13, 19
	s_delay_alu instid0(SALU_CYCLE_1) | instskip(SKIP_1) | instid1(SALU_CYCLE_2)
	s_cvt_u32_f32 s5, s5
	v_writelane_b32 v127, s2, 20
	s_mul_i32 s6, s6, s5
	v_writelane_b32 v127, s3, 21
	v_readfirstlane_b32 s2, v0
	s_mul_hi_u32 s3, s0, s8
	v_writelane_b32 v127, s1, 22
	s_mul_hi_u32 s1, s5, s6
	s_mul_f32 s2, s2, 0x4f7ffffe
	s_add_co_i32 s4, s5, s1
	s_mov_b32 s5, s11
	v_writelane_b32 v127, s4, 23
	s_cvt_f32_u32 s1, s94
	s_add_co_i32 s6, s0, s3
	s_cvt_u32_f32 s2, s2
	v_writelane_b32 v127, s5, 24
	v_rcp_iflag_f32_e32 v0, s1
	s_cvt_f32_u32 s1, s95
	s_sub_co_i32 s4, 0, s92
	v_writelane_b32 v127, s6, 25
	s_delay_alu instid0(SALU_CYCLE_1)
	v_rcp_iflag_f32_e32 v1, s1
	s_mul_i32 s4, s4, s2
	v_nop
	v_readfirstlane_b32 s1, v0
	s_mul_hi_u32 s0, s2, s4
	v_writelane_b32 v127, s7, 26
	s_ashr_i32 s4, s36, 31
	s_add_co_i32 s76, s2, s0
	v_readfirstlane_b32 s3, v1
	s_mul_f32 s1, s1, 0x4f7ffffe
	v_writelane_b32 v127, s4, 27
	s_sub_co_i32 s2, 0, s94
	s_delay_alu instid0(SALU_CYCLE_1) | instskip(SKIP_2) | instid1(SALU_CYCLE_1)
	s_cvt_u32_f32 s0, s1
	s_mul_f32 s1, s3, 0x4f7ffffe
	s_ashr_i32 s3, s37, 31
	v_writelane_b32 v127, s3, 28
	s_delay_alu instid0(SALU_CYCLE_1)
	s_cvt_u32_f32 s1, s1
	s_mul_i32 s2, s2, s0
	s_sub_co_i32 s3, 0, s95
	s_mul_hi_u32 s2, s0, s2
	v_writelane_b32 v127, s10, 29
	s_mul_i32 s3, s3, s1
	s_add_co_i32 s78, s0, s2
	s_mul_hi_u32 s0, s1, s3
	s_mov_b32 s99, s11
	v_writelane_b32 v127, s11, 30
	s_add_co_i32 s80, s1, s0
	s_branch .LBB15_4
.LBB15_2:                               ;   in Loop: Header=BB15_4 Depth=1
	s_or_b32 exec_lo, exec_lo, s100
	s_clause 0x6
	scratch_load_b64 v[42:43], off, off offset:188
	scratch_load_b64 v[12:13], off, off offset:196
	scratch_load_b32 v9, off, off offset:204
	scratch_load_b32 v8, off, off offset:208
	;; [unrolled: 1-line block ×5, first 2 shown]
.LBB15_3:                               ;   in Loop: Header=BB15_4 Depth=1
	s_wait_loadcnt 0x1
	v_mul_lo_u32 v0, v16, s35
	s_wait_loadcnt 0x0
	v_mul_lo_u32 v2, s52, v17
	v_mul_lo_u32 v4, s53, v1
	v_readlane_b32 s0, v127, 6
	v_readlane_b32 s1, v127, 7
	v_mul_lo_u32 v8, s54, v8
	v_mul_lo_u32 v10, s55, v9
	v_dual_ashrrev_i32 v1, 31, v0 :: v_dual_ashrrev_i32 v3, 31, v2
	v_ashrrev_i32_e32 v5, 31, v4
	s_delay_alu instid0(VALU_DEP_4) | instskip(NEXT) | instid1(VALU_DEP_3)
	v_ashrrev_i32_e32 v9, 31, v8
	v_lshl_add_u64 v[0:1], v[0:1], 3, s[0:1]
	v_readlane_b32 s0, v127, 29
	v_readlane_b32 s1, v127, 30
	v_ashrrev_i32_e32 v11, 31, v10
	s_delay_alu instid0(VALU_DEP_4) | instskip(NEXT) | instid1(VALU_DEP_3)
	v_lshl_add_u64 v[0:1], v[2:3], 3, v[0:1]
	v_add_nc_u64_e32 v[12:13], s[0:1], v[12:13]
	v_readlane_b32 s0, v127, 0
	v_readlane_b32 s1, v127, 1
	s_delay_alu instid0(VALU_DEP_4) | instskip(NEXT) | instid1(VALU_DEP_2)
	v_lshl_add_u64 v[0:1], v[4:5], 3, v[0:1]
	v_cmp_le_i64_e32 vcc_lo, s[0:1], v[12:13]
	s_delay_alu instid0(VALU_DEP_2) | instskip(NEXT) | instid1(VALU_DEP_1)
	v_lshl_add_u64 v[0:1], v[8:9], 3, v[0:1]
	v_lshl_add_u64 v[0:1], v[10:11], 3, v[0:1]
	s_or_b32 s99, vcc_lo, s99
	global_store_b64 v[0:1], v[6:7], off
	s_wait_xcnt 0x0
	s_and_not1_b32 exec_lo, exec_lo, s99
	s_cbranch_execz .LBB15_62
.LBB15_4:                               ; =>This Loop Header: Depth=1
                                        ;     Child Loop BB15_7 Depth 2
	v_sub_nc_u32_e32 v0, 0, v12
	s_delay_alu instid0(VALU_DEP_2) | instskip(SKIP_1) | instid1(VALU_DEP_3)
	v_readlane_b32 s0, v127, 18
	v_readlane_b32 s1, v127, 19
	v_max_i32_e32 v42, v12, v0
	s_delay_alu instid0(VALU_DEP_1) | instskip(SKIP_1) | instid1(VALU_DEP_2)
	v_mul_u64_e32 v[0:1], s[0:1], v[42:43]
	v_readlane_b32 s0, v127, 16
	v_mul_lo_u32 v0, v1, s86
	s_delay_alu instid0(VALU_DEP_1) | instskip(NEXT) | instid1(VALU_DEP_1)
	v_dual_add_nc_u32 v2, 1, v1 :: v_dual_sub_nc_u32 v0, v42, v0
	v_subrev_nc_u32_e32 v3, s86, v0
	v_cmp_le_u32_e32 vcc_lo, s86, v0
	s_delay_alu instid0(VALU_DEP_3) | instskip(NEXT) | instid1(VALU_DEP_1)
	v_dual_cndmask_b32 v1, v1, v2 :: v_dual_ashrrev_i32 v2, 31, v12
	v_dual_cndmask_b32 v0, v0, v3 :: v_dual_add_nc_u32 v3, 1, v1
	s_delay_alu instid0(VALU_DEP_1) | instskip(NEXT) | instid1(VALU_DEP_3)
	v_cmp_le_u32_e32 vcc_lo, s86, v0
	v_xor_b32_e32 v2, s0, v2
	v_readlane_b32 s0, v127, 20
	v_readlane_b32 s1, v127, 21
	v_cndmask_b32_e32 v0, v1, v3, vcc_lo
	s_delay_alu instid0(VALU_DEP_1) | instskip(NEXT) | instid1(VALU_DEP_1)
	v_xor_b32_e32 v0, v0, v2
	v_sub_nc_u32_e32 v2, v0, v2
	s_delay_alu instid0(VALU_DEP_1) | instskip(NEXT) | instid1(VALU_DEP_1)
	v_sub_nc_u32_e32 v0, 0, v2
	v_max_i32_e32 v42, v2, v0
	s_delay_alu instid0(VALU_DEP_1) | instskip(SKIP_1) | instid1(VALU_DEP_2)
	v_mul_u64_e32 v[0:1], s[0:1], v[42:43]
	v_readlane_b32 s0, v127, 17
	v_mul_lo_u32 v0, v1, s87
	s_delay_alu instid0(VALU_DEP_1) | instskip(NEXT) | instid1(VALU_DEP_1)
	v_dual_add_nc_u32 v3, 1, v1 :: v_dual_sub_nc_u32 v0, v42, v0
	v_subrev_nc_u32_e32 v4, s87, v0
	v_cmp_le_u32_e32 vcc_lo, s87, v0
	s_delay_alu instid0(VALU_DEP_2) | instskip(NEXT) | instid1(VALU_DEP_1)
	v_dual_cndmask_b32 v1, v1, v3 :: v_dual_cndmask_b32 v0, v0, v4
	v_dual_ashrrev_i32 v3, 31, v2 :: v_dual_add_nc_u32 v4, 1, v1
	s_delay_alu instid0(VALU_DEP_2) | instskip(NEXT) | instid1(VALU_DEP_2)
	v_cmp_le_u32_e32 vcc_lo, s87, v0
	v_xor_b32_e32 v3, s0, v3
	v_readlane_b32 s0, v127, 23
	v_readlane_b32 s1, v127, 24
	v_cndmask_b32_e32 v0, v1, v4, vcc_lo
	s_delay_alu instid0(VALU_DEP_1) | instskip(NEXT) | instid1(VALU_DEP_1)
	v_xor_b32_e32 v0, v0, v3
	v_sub_nc_u32_e32 v3, v0, v3
	s_delay_alu instid0(VALU_DEP_1) | instskip(NEXT) | instid1(VALU_DEP_1)
	v_sub_nc_u32_e32 v0, 0, v3
	v_max_i32_e32 v42, v3, v0
	s_delay_alu instid0(VALU_DEP_1) | instskip(SKIP_1) | instid1(VALU_DEP_2)
	v_mul_u64_e32 v[0:1], s[0:1], v[42:43]
	v_readlane_b32 s0, v127, 22
	v_mul_lo_u32 v0, v1, s88
	s_delay_alu instid0(VALU_DEP_1) | instskip(NEXT) | instid1(VALU_DEP_1)
	v_dual_add_nc_u32 v4, 1, v1 :: v_dual_sub_nc_u32 v0, v42, v0
	v_subrev_nc_u32_e32 v5, s88, v0
	v_cmp_le_u32_e32 vcc_lo, s88, v0
	s_delay_alu instid0(VALU_DEP_3) | instskip(NEXT) | instid1(VALU_DEP_1)
	v_dual_cndmask_b32 v1, v1, v4 :: v_dual_ashrrev_i32 v4, 31, v3
	v_dual_cndmask_b32 v0, v0, v5, vcc_lo :: v_dual_bitop2_b32 v4, s0, v4 bitop3:0x14
	s_delay_alu instid0(VALU_DEP_2) | instskip(NEXT) | instid1(VALU_DEP_2)
	v_add_nc_u32_e32 v5, 1, v1
	v_cmp_le_u32_e32 vcc_lo, s88, v0
	v_readlane_b32 s0, v127, 25
	v_readlane_b32 s1, v127, 26
	s_delay_alu instid0(VALU_DEP_4) | instskip(NEXT) | instid1(VALU_DEP_1)
	v_cndmask_b32_e32 v0, v1, v5, vcc_lo
	v_xor_b32_e32 v0, v0, v4
	s_delay_alu instid0(VALU_DEP_1) | instskip(NEXT) | instid1(VALU_DEP_1)
	v_sub_nc_u32_e32 v4, v0, v4
	v_sub_nc_u32_e32 v0, 0, v4
	s_delay_alu instid0(VALU_DEP_1) | instskip(NEXT) | instid1(VALU_DEP_1)
	v_max_i32_e32 v42, v4, v0
	v_mul_u64_e32 v[0:1], s[0:1], v[42:43]
	v_readlane_b32 s0, v127, 4
	s_delay_alu instid0(VALU_DEP_2) | instskip(NEXT) | instid1(VALU_DEP_1)
	v_mul_lo_u32 v0, v1, s31
	v_dual_add_nc_u32 v5, 1, v1 :: v_dual_sub_nc_u32 v0, v42, v0
	s_delay_alu instid0(VALU_DEP_1) | instskip(NEXT) | instid1(VALU_DEP_2)
	v_cmp_le_u32_e32 vcc_lo, s31, v0
	v_dual_cndmask_b32 v1, v1, v5, vcc_lo :: v_dual_ashrrev_i32 v5, 31, v4
	s_delay_alu instid0(VALU_DEP_1) | instskip(SKIP_2) | instid1(VALU_DEP_2)
	v_xor_b32_e32 v5, s0, v5
	v_subrev_nc_u32_e32 v6, s31, v0
	v_readlane_b32 s0, v127, 11
	v_dual_cndmask_b32 v0, v0, v6, vcc_lo :: v_dual_add_nc_u32 v6, 1, v1
	s_delay_alu instid0(VALU_DEP_1) | instskip(NEXT) | instid1(VALU_DEP_2)
	v_cmp_le_u32_e32 vcc_lo, s31, v0
	v_cndmask_b32_e32 v0, v1, v6, vcc_lo
	v_mul_lo_u32 v1, v3, s47
	s_and_not1_b32 vcc_lo, exec_lo, s0
	s_delay_alu instid0(VALU_DEP_2) | instskip(NEXT) | instid1(VALU_DEP_1)
	v_xor_b32_e32 v0, v0, v5
	v_sub_nc_u32_e32 v16, v0, v5
	v_mul_lo_u32 v0, v2, s34
	v_mul_lo_u32 v5, v4, s46
	v_sub_nc_u32_e32 v8, v2, v1
	s_delay_alu instid0(VALU_DEP_4) | instskip(NEXT) | instid1(VALU_DEP_3)
	v_mul_lo_u32 v6, v16, s45
	v_dual_sub_nc_u32 v9, v12, v0 :: v_dual_sub_nc_u32 v1, v3, v5
	s_delay_alu instid0(VALU_DEP_2)
	v_sub_nc_u32_e32 v17, v4, v6
	s_cbranch_vccnz .LBB15_61
; %bb.5:                                ;   in Loop: Header=BB15_4 Depth=1
	s_clause 0x1
	scratch_store_b64 off, v[12:13], off offset:196
	scratch_store_b32 off, v1, off offset:212
	s_wait_xcnt 0x0
	v_dual_add_nc_u32 v1, s39, v1 :: v_dual_add_nc_u32 v2, s40, v8
	s_clause 0x3
	scratch_store_b32 off, v8, off offset:208
	scratch_store_b32 off, v9, off offset:204
	;; [unrolled: 1-line block ×4, first 2 shown]
	v_dual_sub_nc_u32 v0, 0, v1 :: v_dual_sub_nc_u32 v3, 0, v2
	v_readlane_b32 s0, v127, 14
	v_readlane_b32 s1, v127, 10
	;; [unrolled: 1-line block ×3, first 2 shown]
	s_delay_alu instid0(VALU_DEP_4)
	v_max_i32_e32 v42, v1, v0
	v_subrev_nc_u32_e32 v26, s43, v2
	s_wait_xcnt 0x3
	v_mul_lo_u32 v8, s62, v16
	v_mul_lo_u32 v126, v17, s1
	v_subrev_nc_u32_e32 v19, s42, v1
	v_mul_u64_e32 v[14:15], s[76:77], v[42:43]
	v_readlane_b32 s3, v127, 28
	v_mov_b64_e32 v[6:7], 0
	s_mov_b32 s100, 0
	v_dual_sub_nc_u32 v23, 0, v26 :: v_dual_ashrrev_i32 v37, 31, v19
	v_ashrrev_i32_e32 v28, 31, v26
	v_mul_lo_u32 v0, v15, s92
	s_delay_alu instid0(VALU_DEP_1) | instskip(SKIP_3) | instid1(VALU_DEP_2)
	v_sub_nc_u32_e32 v18, v42, v0
	v_dual_add_nc_u32 v3, s41, v9 :: v_dual_max_i32 v42, v2, v3
	s_wait_xcnt 0x2
	v_ashrrev_i32_e32 v9, 31, v1
	v_mul_u64_e32 v[12:13], s[78:79], v[42:43]
	s_delay_alu instid0(VALU_DEP_3) | instskip(SKIP_2) | instid1(VALU_DEP_3)
	v_dual_sub_nc_u32 v4, 0, v3 :: v_dual_ashrrev_i32 v14, 31, v3
	v_cmp_le_u32_e32 vcc_lo, s92, v18
	v_ashrrev_i32_e32 v12, 31, v2
	v_dual_add_nc_u32 v14, 1, v15 :: v_dual_bitop2_b32 v30, s98, v14 bitop3:0x14
	s_delay_alu instid0(VALU_DEP_1) | instskip(SKIP_1) | instid1(VALU_DEP_1)
	v_dual_cndmask_b32 v40, v15, v14, vcc_lo :: v_dual_bitop2_b32 v32, s3, v12 bitop3:0x14
	v_mul_lo_u32 v0, v13, s94
	v_sub_nc_u32_e32 v21, v42, v0
	v_max_i32_e32 v42, v3, v4
	v_subrev_nc_u32_e32 v0, s0, v2
	s_mul_i32 s0, s63, s1
	v_xor_b32_e32 v35, s2, v9
	s_delay_alu instid0(VALU_DEP_3) | instskip(NEXT) | instid1(VALU_DEP_3)
	v_mul_u64_e32 v[10:11], s[80:81], v[42:43]
	v_dual_sub_nc_u32 v5, 0, v0 :: v_dual_ashrrev_i32 v25, 31, v0
	s_delay_alu instid0(VALU_DEP_1) | instskip(SKIP_1) | instid1(VALU_DEP_4)
	v_xor_b32_e32 v31, s3, v25
	v_xor_b32_e32 v25, s2, v37
	v_mul_lo_u32 v4, v11, s95
	s_delay_alu instid0(VALU_DEP_1) | instskip(NEXT) | instid1(VALU_DEP_1)
	v_dual_sub_nc_u32 v10, v42, v4 :: v_dual_max_i32 v42, v0, v5
	v_mul_u64_e32 v[4:5], s[78:79], v[42:43]
	v_mul_lo_u32 v4, s0, v17
	v_readlane_b32 s0, v127, 15
	s_delay_alu instid0(VALU_DEP_1) | instskip(SKIP_1) | instid1(VALU_DEP_2)
	v_subrev_nc_u32_e32 v22, s0, v1
	v_readlane_b32 s0, v127, 12
	v_dual_ashrrev_i32 v36, 31, v22 :: v_dual_sub_nc_u32 v33, 0, v22
	s_wait_xcnt 0x0
	s_delay_alu instid0(VALU_DEP_2) | instskip(SKIP_1) | instid1(VALU_DEP_2)
	v_subrev_nc_u32_e32 v17, s0, v3
	v_readlane_b32 s0, v127, 13
	v_dual_sub_nc_u32 v27, 0, v19 :: v_dual_ashrrev_i32 v38, 31, v17
	s_delay_alu instid0(VALU_DEP_2) | instskip(SKIP_1) | instid1(VALU_DEP_2)
	v_subrev_nc_u32_e32 v16, s0, v3
	v_readlane_b32 s0, v127, 5
	v_dual_sub_nc_u32 v24, 0, v17 :: v_dual_ashrrev_i32 v39, 31, v16
	v_sub_nc_u32_e32 v20, 0, v16
	s_delay_alu instid0(VALU_DEP_3) | instskip(SKIP_1) | instid1(VALU_DEP_1)
	v_mul_lo_u32 v12, s0, v126
	v_mul_lo_u32 v9, v5, s94
	v_dual_sub_nc_u32 v34, v42, v9 :: v_dual_ashrrev_i32 v9, 31, v8
	v_max_i32_e32 v42, v26, v23
	v_subrev_nc_u32_e32 v23, s92, v18
	v_xor_b32_e32 v29, s3, v28
	v_xor_b32_e32 v28, s2, v36
	v_subrev_nc_u32_e32 v36, s94, v21
	v_mul_u64_e32 v[14:15], s[78:79], v[42:43]
	v_add_nc_u32_e32 v14, s1, v126
	v_readlane_b32 s0, v127, 2
	v_readlane_b32 s1, v127, 3
	s_delay_alu instid0(VALU_DEP_1)
	v_lshl_add_u64 v[8:9], v[8:9], 3, s[0:1]
	scratch_store_b32 off, v14, off         ; 4-byte Folded Spill
	s_wait_xcnt 0x0
	v_dual_cndmask_b32 v14, v18, v23, vcc_lo :: v_dual_add_nc_u32 v18, 1, v40
	v_add_nc_u32_e32 v23, 1, v13
	scratch_store_b64 off, v[8:9], off offset:4 ; 8-byte Folded Spill
	v_readlane_b32 s0, v127, 8
	v_cmp_le_u32_e32 vcc_lo, s92, v14
	v_readlane_b32 s1, v127, 9
	v_cndmask_b32_e32 v14, v40, v18, vcc_lo
	v_cmp_le_u32_e32 vcc_lo, s94, v21
	v_xor_b32_e32 v18, s98, v39
	v_subrev_nc_u32_e32 v39, s95, v10
	v_dual_cndmask_b32 v37, v13, v23, vcc_lo :: v_dual_bitop2_b32 v23, s98, v38 bitop3:0x14
	v_dual_cndmask_b32 v21, v21, v36, vcc_lo :: v_dual_bitop2_b32 v14, v14, v35 bitop3:0x14
	s_delay_alu instid0(VALU_DEP_2) | instskip(NEXT) | instid1(VALU_DEP_2)
	v_dual_ashrrev_i32 v13, 31, v12 :: v_dual_add_nc_u32 v36, 1, v37
	v_cmp_le_u32_e32 vcc_lo, s94, v21
	s_delay_alu instid0(VALU_DEP_2) | instskip(SKIP_2) | instid1(VALU_DEP_3)
	v_dual_cndmask_b32 v37, v37, v36 :: v_dual_sub_nc_u32 v14, v14, v35
	v_add_nc_u32_e32 v35, 1, v11
	v_cmp_le_u32_e32 vcc_lo, s95, v10
	v_mul_lo_u32 v21, v14, s50
	v_cmp_gt_i32_e64 s17, s49, v14
	v_xor_b32_e32 v38, v37, v32
	v_mul_lo_u32 v37, v15, s94
	v_cndmask_b32_e32 v36, v11, v35, vcc_lo
	v_mul_lo_u32 v35, v14, s36
	s_wait_xcnt 0x0
	v_sub_nc_u32_e32 v8, v38, v32
	s_delay_alu instid0(VALU_DEP_3) | instskip(SKIP_1) | instid1(VALU_DEP_3)
	v_dual_cndmask_b32 v39, v10, v39 :: v_dual_add_nc_u32 v40, 1, v36
	v_lshl_add_u64 v[10:11], v[12:13], 3, s[0:1]
	v_cmp_gt_i32_e64 s18, s50, v8
	s_delay_alu instid0(VALU_DEP_3)
	v_cmp_le_u32_e32 vcc_lo, s95, v39
	v_cmp_eq_u32_e64 s1, v35, v1
	v_dual_sub_nc_u32 v35, v42, v37 :: v_dual_cndmask_b32 v9, v36, v40, vcc_lo
	v_add_nc_u32_e32 v12, v8, v21
	v_mul_lo_u32 v1, v8, s37
	v_cmp_le_u32_e32 vcc_lo, s94, v34
	s_delay_alu instid0(VALU_DEP_4) | instskip(SKIP_3) | instid1(VALU_DEP_3)
	v_cmp_le_u32_e64 s0, s94, v35
	v_xor_b32_e32 v13, v9, v30
	v_max_i32_e32 v42, v22, v33
	v_mul_lo_u32 v9, v12, s51
	v_sub_nc_u32_e32 v13, v13, v30
	s_delay_alu instid0(VALU_DEP_3)
	v_mul_u64_e32 v[32:33], s[76:77], v[42:43]
	v_add_nc_u32_e32 v12, 1, v5
	v_subrev_nc_u32_e32 v32, s94, v34
	v_cmp_eq_u32_e64 s5, v1, v2
	v_or_b32_e32 v30, v13, v8
	v_mul_lo_u32 v1, v13, s38
	v_cndmask_b32_e32 v5, v5, v12, vcc_lo
	v_cndmask_b32_e32 v2, v34, v32, vcc_lo
	v_cmp_gt_i32_e64 s2, s51, v13
	v_or_b32_e32 v32, v30, v14
	s_and_b32 s90, s1, s5
	v_add_nc_u32_e32 v12, 1, v5
	v_cmp_le_u32_e32 vcc_lo, s94, v2
	s_and_b32 s12, s2, s18
	v_cmp_eq_u32_e64 s7, v1, v3
	s_delay_alu instid0(VALU_DEP_3) | instskip(SKIP_2) | instid1(VALU_DEP_2)
	v_dual_cndmask_b32 v2, v5, v12 :: v_dual_add_nc_u32 v3, 1, v15
	v_add_nc_u32_e32 v36, v13, v9
	v_cmp_lt_i32_e32 vcc_lo, -1, v32
	v_dual_ashrrev_i32 v37, 31, v36 :: v_dual_bitop2_b32 v1, v2, v31 bitop3:0x14
	s_and_b32 s3, s12, vcc_lo
	s_and_b32 vcc_lo, s90, s7
	s_delay_alu instid0(VALU_DEP_1) | instskip(SKIP_3) | instid1(VALU_DEP_2)
	v_sub_nc_u32_e32 v2, v1, v31
	v_subrev_nc_u32_e32 v1, s94, v35
	v_cndmask_b32_e64 v3, v15, v3, s0
	s_and_b32 s101, s3, s17
	v_dual_cndmask_b32 v1, v35, v1, s0 :: v_dual_bitop2_b32 v31, v13, v2 bitop3:0x54
	s_delay_alu instid0(VALU_DEP_2) | instskip(SKIP_1) | instid1(VALU_DEP_3)
	v_add_nc_u32_e32 v12, 1, v3
	v_mul_lo_u32 v15, v33, s92
	v_dual_add_nc_u32 v32, v2, v21 :: v_dual_bitop2_b32 v34, v31, v14 bitop3:0x54
	s_delay_alu instid0(VALU_DEP_4) | instskip(SKIP_2) | instid1(VALU_DEP_3)
	v_cmp_le_u32_e64 s0, s94, v1
	v_cmp_gt_i32_e64 s19, s50, v2
	v_mul_lo_u32 v5, v2, s37
	v_cndmask_b32_e64 v1, v3, v12, s0
	v_mul_lo_u32 v3, v32, s51
	v_cmp_lt_i32_e64 s0, -1, v34
	v_sub_nc_u32_e32 v12, v42, v15
	s_and_b32 s13, s2, s19
	v_add_nc_u32_e32 v15, 1, v33
	s_and_b32 s3, s13, s0
	s_delay_alu instid0(VALU_DEP_2)
	v_cmp_le_u32_e64 s0, s92, v12
	v_cmp_eq_u32_e64 s6, v5, v0
	s_and_b32 s102, s3, s17
	v_add_nc_u32_e32 v34, v13, v3
	v_cndmask_b32_e64 v15, v33, v15, s0
	v_xor_b32_e32 v0, v1, v29
	s_and_b32 s68, s1, s6
	s_delay_alu instid0(VALU_DEP_2) | instskip(NEXT) | instid1(VALU_DEP_2)
	v_add_nc_u32_e32 v32, 1, v15
	v_dual_sub_nc_u32 v5, v0, v29 :: v_dual_max_i32 v42, v19, v27
	s_delay_alu instid0(VALU_DEP_1) | instskip(SKIP_1) | instid1(VALU_DEP_3)
	v_mul_u64_e32 v[0:1], s[76:77], v[42:43]
	v_subrev_nc_u32_e32 v0, s92, v12
	v_mul_lo_u32 v27, v5, s37
	v_cmp_gt_i32_e64 s20, s50, v5
	s_delay_alu instid0(VALU_DEP_3) | instskip(SKIP_1) | instid1(VALU_DEP_1)
	v_cndmask_b32_e64 v12, v12, v0, s0
	s_and_b32 s14, s2, s20
	v_cmp_le_u32_e64 s0, s92, v12
	v_or_b32_e32 v29, v13, v5
	v_cmp_eq_u32_e64 s8, v27, v26
	s_delay_alu instid0(VALU_DEP_3) | instskip(SKIP_3) | instid1(VALU_DEP_1)
	v_dual_cndmask_b32 v12, v15, v32, s0 :: v_dual_add_nc_u32 v21, v5, v21
	s_and_b32 s69, s1, s8
	s_and_b32 s0, s68, s7
	s_and_b32 s1, s69, s7
	v_xor_b32_e32 v12, v12, v28
	v_mul_lo_u32 v0, v21, s51
	v_ashrrev_i32_e32 v35, 31, v34
	s_delay_alu instid0(VALU_DEP_3) | instskip(NEXT) | instid1(VALU_DEP_1)
	v_dual_sub_nc_u32 v12, v12, v28 :: v_dual_bitop2_b32 v33, v29, v14 bitop3:0x54
	v_cmp_lt_i32_e64 s3, -1, v33
	s_delay_alu instid0(VALU_DEP_2)
	v_or_b32_e32 v15, v30, v12
	v_or_b32_e32 v21, v29, v12
	v_add_nc_u32_e32 v26, v13, v0
	scratch_store_b64 off, v[36:37], off offset:12 ; 8-byte Folded Spill
	s_and_b32 s2, s14, s3
	v_mul_lo_u32 v28, v12, s36
	s_wait_xcnt 0x0
	s_and_b32 s103, s2, s17
	v_ashrrev_i32_e32 v27, 31, v26
	scratch_store_b64 off, v[34:35], off offset:20 ; 8-byte Folded Spill
	v_mul_lo_u32 v32, v12, s50
	v_cmp_lt_i32_e64 s2, -1, v15
	v_add_nc_u32_e32 v15, 1, v1
	scratch_store_b64 off, v[26:27], off offset:28 ; 8-byte Folded Spill
	s_wait_xcnt 0x0
	v_mul_lo_u32 v27, v1, s92
	v_or_b32_e32 v26, v31, v12
	v_cmp_lt_i32_e64 s3, -1, v21
	s_and_b32 s9, s12, s2
	v_cmp_eq_u32_e64 s2, v28, v22
	v_cmp_gt_i32_e64 s27, s49, v12
	s_and_b32 s10, s14, s3
	v_add_nc_u32_e32 v22, v8, v32
	s_and_b32 s91, s2, s5
	s_and_b32 s104, s9, s27
	v_dual_sub_nc_u32 v21, v42, v27 :: v_dual_max_i32 v42, v17, v24
	v_cmp_lt_i32_e64 s4, -1, v26
	v_add_nc_u32_e32 v24, v5, v32
	s_and_b32 vcc_hi, s10, s27
	v_cmp_le_u32_e64 s3, s92, v21
	v_mul_u64_e32 v[26:27], s[80:81], v[42:43]
	v_subrev_nc_u32_e32 v26, s92, v21
	v_add_nc_u32_e32 v28, v2, v32
	s_and_b32 s93, s2, s8
	v_cndmask_b32_e64 v32, v1, v15, s3
	v_mul_lo_u32 v1, v24, s51
	v_cndmask_b32_e64 v26, v21, v26, s3
	v_mul_lo_u32 v21, v22, s51
	v_mul_lo_u32 v15, v28, s51
	v_add_nc_u32_e32 v33, 1, v32
	s_and_b32 s4, s13, s4
	v_cmp_le_u32_e64 s3, s92, v26
	s_and_b32 s70, s2, s6
	s_and_b32 s60, s4, s27
	;; [unrolled: 1-line block ×4, first 2 shown]
	v_cndmask_b32_e64 v22, v32, v33, s3
	v_add_nc_u32_e32 v32, v13, v1
	v_dual_add_nc_u32 v24, v13, v21 :: v_dual_add_nc_u32 v34, v13, v15
	s_and_b32 s3, s93, s7
	s_delay_alu instid0(VALU_DEP_2) | instskip(NEXT) | instid1(VALU_DEP_1)
	v_dual_ashrrev_i32 v33, 31, v32 :: v_dual_bitop2_b32 v22, v22, v25 bitop3:0x14
	v_dual_ashrrev_i32 v35, 31, v34 :: v_dual_sub_nc_u32 v22, v22, v25
	s_delay_alu instid0(VALU_DEP_3)
	v_ashrrev_i32_e32 v25, 31, v24
	scratch_store_b64 off, v[32:33], off offset:44 ; 8-byte Folded Spill
	v_or_b32_e32 v26, v29, v22
	scratch_store_b64 off, v[24:25], off offset:36 ; 8-byte Folded Spill
	s_wait_xcnt 0x0
	v_mul_lo_u32 v24, v22, s36
	v_mul_lo_u32 v29, v22, s50
	v_or_b32_e32 v25, v30, v22
	v_mul_lo_u32 v30, v27, s95
	v_cmp_gt_i32_e64 s28, s49, v22
	v_or_b32_e32 v28, v31, v22
	s_delay_alu instid0(VALU_DEP_4)
	v_cmp_lt_i32_e64 s9, -1, v25
	v_add_nc_u32_e32 v25, 1, v27
	v_cmp_lt_i32_e64 s10, -1, v26
	s_and_b32 s12, s12, s9
	v_cmp_eq_u32_e64 s9, v24, v19
	v_sub_nc_u32_e32 v24, v42, v30
	s_and_b32 s10, s14, s10
	v_add_nc_u32_e32 v19, v8, v29
	s_and_b32 s48, s10, s28
	v_add_nc_u32_e32 v26, v5, v29
	v_cmp_le_u32_e64 s10, s95, v24
	v_cmp_lt_i32_e64 s11, -1, v28
	v_mul_lo_u32 v19, v19, s51
	s_and_b32 s71, s9, s5
	v_mul_lo_u32 v26, v26, s51
	v_cndmask_b32_e64 v25, v27, v25, s10
	v_add_nc_u32_e32 v28, v2, v29
	v_subrev_nc_u32_e32 v29, s95, v24
	v_max_i32_e32 v42, v16, v20
	s_and_b32 s72, s9, s8
	v_add_nc_u32_e32 v27, 1, v25
	s_and_b32 s73, s9, s6
	v_cndmask_b32_e64 v24, v24, v29, s10
	v_mul_lo_u32 v28, v28, s51
	v_dual_add_nc_u32 v30, v13, v19 :: v_dual_add_nc_u32 v32, v13, v26
	s_and_b32 s11, s13, s11
	s_delay_alu instid0(VALU_DEP_3)
	v_cmp_le_u32_e64 s5, s95, v24
	s_and_b32 s66, s11, s28
	v_ashrrev_i32_e32 v31, 31, v30
	scratch_store_b64 off, v[34:35], off offset:52 ; 8-byte Folded Spill
	v_dual_ashrrev_i32 v33, 31, v32 :: v_dual_cndmask_b32 v24, v25, v27, s5
	s_and_b32 s61, s12, s28
	s_wait_xcnt 0x0
	v_add_nc_u32_e32 v34, v13, v28
	scratch_store_b64 off, v[30:31], off offset:60 ; 8-byte Folded Spill
	s_and_b32 s5, s71, s7
	v_xor_b32_e32 v20, v24, v23
	v_mul_u64_e32 v[24:25], s[80:81], v[42:43]
	s_and_b32 s6, s72, s7
	s_and_b32 s7, s73, s7
	s_delay_alu instid0(VALU_DEP_2) | instskip(NEXT) | instid1(VALU_DEP_1)
	v_dual_sub_nc_u32 v13, v20, v23 :: v_dual_ashrrev_i32 v35, 31, v34
	v_or_b32_e32 v23, v13, v5
	v_dual_add_nc_u32 v38, v13, v3 :: v_dual_bitop2_b32 v24, v13, v8 bitop3:0x54
	v_dual_add_nc_u32 v36, v13, v0 :: v_dual_add_nc_u32 v40, v13, v19
	scratch_store_b64 off, v[32:33], off offset:68 ; 8-byte Folded Spill
	v_dual_add_nc_u32 v48, v13, v21 :: v_dual_bitop2_b32 v29, v24, v14 bitop3:0x54
	v_or_b32_e32 v20, v13, v2
	s_wait_xcnt 0x1
	v_dual_ashrrev_i32 v37, 31, v36 :: v_dual_bitop2_b32 v30, v23, v14 bitop3:0x54
	scratch_store_b64 off, v[34:35], off offset:76 ; 8-byte Folded Spill
	s_wait_xcnt 0x0
	v_dual_add_nc_u32 v34, v13, v9 :: v_dual_bitop2_b32 v32, v24, v12 bitop3:0x54
	v_cmp_lt_i32_e64 s9, -1, v29
	v_or_b32_e32 v29, v23, v22
	v_dual_add_nc_u32 v44, v13, v26 :: v_dual_add_nc_u32 v46, v13, v28
	s_delay_alu instid0(VALU_DEP_4)
	v_ashrrev_i32_e32 v35, 31, v34
	v_cmp_lt_i32_e64 s15, -1, v32
	v_add_nc_u32_e32 v32, v13, v15
	v_cmp_lt_i32_e64 s10, -1, v30
	v_dual_ashrrev_i32 v45, 31, v44 :: v_dual_bitop2_b32 v30, v20, v22 bitop3:0x54
	v_cmp_gt_i32_e64 s8, s51, v13
	v_mul_lo_u32 v27, v13, s38
	v_or_b32_e32 v31, v20, v14
	s_delay_alu instid0(VALU_DEP_4)
	v_cmp_lt_i32_e64 s14, -1, v30
	v_dual_add_nc_u32 v30, v13, v1 :: v_dual_bitop2_b32 v13, v23, v12 bitop3:0x54
	v_ashrrev_i32_e32 v39, 31, v38
	s_and_b32 s22, s8, s18
	s_and_b32 s23, s8, s20
	;; [unrolled: 1-line block ×3, first 2 shown]
	v_cmp_lt_i32_e64 s8, -1, v13
	v_mul_lo_u32 v13, v25, s95
	v_dual_ashrrev_i32 v47, 31, v46 :: v_dual_bitop2_b32 v20, v20, v12 bitop3:0x54
	v_cmp_lt_i32_e64 s11, -1, v31
	v_ashrrev_i32_e32 v33, 31, v32
	v_cmp_eq_u32_e64 s21, v27, v17
	s_delay_alu instid0(VALU_DEP_4)
	v_cmp_lt_i32_e64 s16, -1, v20
	v_add_nc_u32_e32 v20, 1, v25
	s_and_b32 s29, s24, s11
	s_and_b32 s64, s24, s14
	v_dual_ashrrev_i32 v41, 31, v40 :: v_dual_bitop2_b32 v24, v24, v22 bitop3:0x54
	v_sub_nc_u32_e32 v13, v42, v13
	v_cmp_lt_i32_e64 s13, -1, v29
	s_and_b32 s25, s22, s9
	v_cmp_lt_i32_e64 s12, -1, v24
	s_and_b32 s26, s23, s10
	v_cmp_le_u32_e64 s11, s95, v13
	s_and_b32 s33, s23, s13
	s_and_b32 s23, s23, s8
	;; [unrolled: 1-line block ×4, first 2 shown]
	v_cndmask_b32_e64 v20, v25, v20, s11
	v_subrev_nc_u32_e32 v17, s95, v13
	s_and_b32 s24, s24, s16
	s_and_b32 s8, s90, s21
	;; [unrolled: 1-line block ×4, first 2 shown]
	v_dual_cndmask_b32 v13, v13, v17, s11 :: v_dual_add_nc_u32 v17, 1, v20
	s_and_b32 s11, s71, s21
	s_and_b32 s12, s72, s21
	;; [unrolled: 1-line block ×3, first 2 shown]
	s_delay_alu instid0(VALU_DEP_1)
	v_cmp_le_u32_e64 s14, s95, v13
	s_and_b32 s15, s93, s21
	s_and_b32 s16, s70, s21
	;; [unrolled: 1-line block ×4, first 2 shown]
	v_cndmask_b32_e64 v13, v20, v17, s14
	s_and_b32 s14, s91, s21
	s_and_b32 s84, s26, s17
	;; [unrolled: 1-line block ×4, first 2 shown]
	v_xor_b32_e32 v13, v13, v18
	s_and_b32 s33, s23, s27
	s_and_b32 s83, s24, s27
	;; [unrolled: 1-line block ×3, first 2 shown]
	v_dual_ashrrev_i32 v49, 31, v48 :: v_dual_ashrrev_i32 v31, 31, v30
	v_sub_nc_u32_e32 v13, v13, v18
	s_and_b32 s64, s64, s28
	s_clause 0x3
	scratch_store_b64 off, v[34:35], off offset:84
	scratch_store_b64 off, v[38:39], off offset:100
	;; [unrolled: 1-line block ×4, first 2 shown]
	v_dual_add_nc_u32 v24, v13, v9 :: v_dual_bitop2_b32 v8, v13, v8 bitop3:0x54
	s_clause 0x3
	scratch_store_b64 off, v[36:37], off offset:92
	scratch_store_b64 off, v[40:41], off offset:108
	;; [unrolled: 1-line block ×4, first 2 shown]
	v_or_b32_e32 v9, v8, v12
	v_dual_add_nc_u32 v0, v13, v0 :: v_dual_bitop2_b32 v2, v13, v2 bitop3:0x54
	v_or_b32_e32 v5, v13, v5
	v_or_b32_e32 v18, v8, v22
	v_dual_add_nc_u32 v58, v13, v28 :: v_dual_bitop2_b32 v8, v8, v14 bitop3:0x54
	v_mul_lo_u32 v17, v13, s38
	v_cmp_gt_i32_e64 s21, s51, v13
	v_add_nc_u32_e32 v56, v13, v26
	s_delay_alu instid0(VALU_DEP_4)
	v_cmp_lt_i32_e64 s22, -1, v8
	v_add_nc_u32_e32 v8, v13, v3
	v_or_b32_e32 v20, v5, v12
	v_or_b32_e32 v23, v5, v22
	;; [unrolled: 1-line block ×4, first 2 shown]
	v_dual_add_nc_u32 v60, v13, v21 :: v_dual_bitop2_b32 v22, v2, v22 bitop3:0x54
	v_dual_add_nc_u32 v62, v13, v1 :: v_dual_bitop2_b32 v2, v2, v14 bitop3:0x54
	v_add_nc_u32_e32 v14, v13, v19
	v_add_nc_u32_e32 v64, v13, v15
	v_cmp_lt_i32_e64 s25, -1, v18
	s_delay_alu instid0(VALU_DEP_4)
	v_cmp_lt_i32_e64 s24, -1, v2
	v_cmp_lt_i32_e64 s29, -1, v9
	s_and_b32 s74, s21, s18
	s_and_b32 s75, s21, s20
	;; [unrolled: 1-line block ×3, first 2 shown]
	v_ashrrev_i32_e32 v1, 31, v0
	v_cmp_lt_i32_e64 s26, -1, v23
	v_ashrrev_i32_e32 v9, 31, v8
	v_cmp_lt_i32_e64 s23, -1, v5
	v_cmp_lt_i32_e64 s18, -1, v22
	;; [unrolled: 1-line block ×4, first 2 shown]
	v_cmp_eq_u32_e64 s30, v17, v16
	v_dual_ashrrev_i32 v25, 31, v24 :: v_dual_ashrrev_i32 v15, 31, v14
	v_dual_ashrrev_i32 v57, 31, v56 :: v_dual_ashrrev_i32 v59, 31, v58
	;; [unrolled: 1-line block ×3, first 2 shown]
	v_ashrrev_i32_e32 v65, 31, v64
	s_and_b32 s56, s74, s22
	s_and_b32 s57, s74, s25
	;; [unrolled: 1-line block ×27, first 2 shown]
	s_clause 0x5
	scratch_store_b64 off, v[32:33], off offset:148
	scratch_store_b64 off, v[24:25], off offset:156
	;; [unrolled: 1-line block ×6, first 2 shown]
	s_branch .LBB15_7
.LBB15_6:                               ;   in Loop: Header=BB15_7 Depth=2
	s_wait_xcnt 0x0
	s_or_b32 exec_lo, exec_lo, s17
	s_wait_loadcnt 0x1a
	v_fma_f64 v[66:67], v[66:67], v[68:69], v[6:7]
	scratch_load_b32 v5, off, off           ; 4-byte Folded Reload
	v_dual_add_nc_u32 v126, 1, v126 :: v_dual_add_nc_u32 v4, s63, v4
	v_add_nc_u64_e32 v[10:11], 0xd8, v[10:11]
	v_dual_cndmask_b32 v7, v7, v67 :: v_dual_cndmask_b32 v6, v6, v66
	s_delay_alu instid0(VALU_DEP_1) | instskip(SKIP_1) | instid1(VALU_DEP_1)
	v_mov_b64_e32 v[66:67], v[6:7]
	s_wait_loadcnt 0x1a
	v_fmac_f64_e32 v[66:67], v[74:75], v[76:77]
	s_delay_alu instid0(VALU_DEP_1) | instskip(NEXT) | instid1(VALU_DEP_1)
	v_dual_cndmask_b32 v7, v7, v67, s8 :: v_dual_cndmask_b32 v6, v6, v66, s8
	v_mov_b64_e32 v[66:67], v[6:7]
	s_wait_loadcnt 0x19
	s_delay_alu instid0(VALU_DEP_1) | instskip(NEXT) | instid1(VALU_DEP_1)
	v_fmac_f64_e32 v[66:67], v[78:79], v[70:71]
	v_dual_cndmask_b32 v7, v7, v67, s18 :: v_dual_cndmask_b32 v6, v6, v66, s18
	s_delay_alu instid0(VALU_DEP_1) | instskip(SKIP_1) | instid1(VALU_DEP_1)
	v_mov_b64_e32 v[66:67], v[6:7]
	s_wait_loadcnt 0x18
	v_fmac_f64_e32 v[66:67], v[82:83], v[84:85]
	s_delay_alu instid0(VALU_DEP_1) | instskip(NEXT) | instid1(VALU_DEP_1)
	v_dual_cndmask_b32 v7, v7, v67, s1 :: v_dual_cndmask_b32 v6, v6, v66, s1
	v_mov_b64_e32 v[66:67], v[6:7]
	s_wait_loadcnt 0x17
	s_delay_alu instid0(VALU_DEP_1) | instskip(NEXT) | instid1(VALU_DEP_1)
	v_fmac_f64_e32 v[66:67], v[86:87], v[80:81]
	v_dual_cndmask_b32 v7, v7, v67, s9 :: v_dual_cndmask_b32 v6, v6, v66, s9
	;; [unrolled: 11-line block ×3, first 2 shown]
	s_delay_alu instid0(VALU_DEP_1) | instskip(SKIP_1) | instid1(VALU_DEP_1)
	v_mov_b64_e32 v[66:67], v[6:7]
	s_wait_loadcnt 0x14
	v_fmac_f64_e32 v[66:67], v[98:99], v[100:101]
	s_wait_loadcnt 0x0
	v_cmp_ge_i32_e64 s17, v126, v5
	s_or_b32 s100, s17, s100
	v_dual_cndmask_b32 v7, v7, v67, s10 :: v_dual_cndmask_b32 v6, v6, v66, s10
	s_delay_alu instid0(VALU_DEP_1) | instskip(NEXT) | instid1(VALU_DEP_1)
	v_mov_b64_e32 v[66:67], v[6:7]
	v_fmac_f64_e32 v[66:67], v[102:103], v[96:97]
	s_delay_alu instid0(VALU_DEP_1) | instskip(NEXT) | instid1(VALU_DEP_1)
	v_dual_cndmask_b32 v7, v7, v67, s20 :: v_dual_cndmask_b32 v6, v6, v66, s20
	v_mov_b64_e32 v[66:67], v[6:7]
	s_delay_alu instid0(VALU_DEP_1) | instskip(NEXT) | instid1(VALU_DEP_1)
	v_fmac_f64_e32 v[66:67], v[106:107], v[108:109]
	v_dual_cndmask_b32 v7, v7, v67, s5 :: v_dual_cndmask_b32 v6, v6, v66, s5
	s_delay_alu instid0(VALU_DEP_1) | instskip(NEXT) | instid1(VALU_DEP_1)
	v_mov_b64_e32 v[66:67], v[6:7]
	v_fmac_f64_e32 v[66:67], v[110:111], v[104:105]
	s_delay_alu instid0(VALU_DEP_1) | instskip(NEXT) | instid1(VALU_DEP_1)
	v_dual_cndmask_b32 v7, v7, v67, s11 :: v_dual_cndmask_b32 v6, v6, v66, s11
	v_mov_b64_e32 v[66:67], v[6:7]
	s_delay_alu instid0(VALU_DEP_1) | instskip(NEXT) | instid1(VALU_DEP_1)
	v_fmac_f64_e32 v[66:67], v[114:115], v[116:117]
	;; [unrolled: 9-line block ×9, first 2 shown]
	v_dual_cndmask_b32 v1, v1, v3, s16 :: v_dual_cndmask_b32 v0, v0, v2, s16
	s_delay_alu instid0(VALU_DEP_1) | instskip(NEXT) | instid1(VALU_DEP_1)
	v_mov_b64_e32 v[2:3], v[0:1]
	v_fmac_f64_e32 v[2:3], v[54:55], v[48:49]
	s_delay_alu instid0(VALU_DEP_1)
	v_dual_cndmask_b32 v7, v1, v3, s26 :: v_dual_cndmask_b32 v6, v0, v2, s26
	s_wait_xcnt 0x0
	s_and_not1_b32 exec_lo, exec_lo, s100
	s_cbranch_execz .LBB15_2
.LBB15_7:                               ;   Parent Loop BB15_4 Depth=1
                                        ; =>  This Inner Loop Header: Depth=2
	scratch_load_b64 v[0:1], off, off offset:4 ; 8-byte Folded Reload
	global_load_b64 v[66:67], v[10:11], off
	v_ashrrev_i32_e32 v5, 31, v4
	v_mov_b64_e32 v[68:69], 0
	s_wait_loadcnt 0x1
	s_delay_alu instid0(VALU_DEP_2)
	v_lshl_add_u64 v[72:73], v[4:5], 3, v[0:1]
	s_wait_xcnt 0x0
	s_and_saveexec_b32 s17, s101
	s_cbranch_execz .LBB15_9
; %bb.8:                                ;   in Loop: Header=BB15_7 Depth=2
	scratch_load_b64 v[0:1], off, off offset:12 ; 8-byte Folded Reload
	s_wait_loadcnt 0x0
	v_lshl_add_u64 v[0:1], v[0:1], 3, v[72:73]
	global_load_b64 v[68:69], v[0:1], off
.LBB15_9:                               ;   in Loop: Header=BB15_7 Depth=2
	s_wait_xcnt 0x0
	s_or_b32 exec_lo, exec_lo, s17
	global_load_b64 v[74:75], v[10:11], off offset:8
	v_mov_b64_e32 v[70:71], 0
	v_mov_b64_e32 v[76:77], 0
	s_wait_xcnt 0x0
	s_and_saveexec_b32 s17, s67
	s_cbranch_execz .LBB15_11
; %bb.10:                               ;   in Loop: Header=BB15_7 Depth=2
	scratch_load_b64 v[0:1], off, off offset:84 ; 8-byte Folded Reload
	s_wait_loadcnt 0x0
	v_lshl_add_u64 v[0:1], v[0:1], 3, v[72:73]
	global_load_b64 v[76:77], v[0:1], off
.LBB15_11:                              ;   in Loop: Header=BB15_7 Depth=2
	s_wait_xcnt 0x0
	s_or_b32 exec_lo, exec_lo, s17
	global_load_b64 v[78:79], v[10:11], off offset:16
	s_wait_xcnt 0x0
	s_and_saveexec_b32 s17, s29
	s_cbranch_execz .LBB15_13
; %bb.12:                               ;   in Loop: Header=BB15_7 Depth=2
	scratch_load_b64 v[0:1], off, off offset:156 ; 8-byte Folded Reload
	s_wait_loadcnt 0x0
	v_lshl_add_u64 v[0:1], v[0:1], 3, v[72:73]
	global_load_b64 v[70:71], v[0:1], off
.LBB15_13:                              ;   in Loop: Header=BB15_7 Depth=2
	s_wait_xcnt 0x0
	s_or_b32 exec_lo, exec_lo, s17
	global_load_b64 v[82:83], v[10:11], off offset:24
	v_mov_b64_e32 v[80:81], 0
	v_mov_b64_e32 v[84:85], 0
	s_wait_xcnt 0x0
	s_and_saveexec_b32 s17, s103
	s_cbranch_execz .LBB15_15
; %bb.14:                               ;   in Loop: Header=BB15_7 Depth=2
	scratch_load_b64 v[0:1], off, off offset:28 ; 8-byte Folded Reload
	s_wait_loadcnt 0x0
	v_lshl_add_u64 v[0:1], v[0:1], 3, v[72:73]
	global_load_b64 v[84:85], v[0:1], off
.LBB15_15:                              ;   in Loop: Header=BB15_7 Depth=2
	s_wait_xcnt 0x0
	s_or_b32 exec_lo, exec_lo, s17
	global_load_b64 v[86:87], v[10:11], off offset:32
	s_wait_xcnt 0x0
	s_and_saveexec_b32 s17, s84
	s_cbranch_execz .LBB15_17
; %bb.16:                               ;   in Loop: Header=BB15_7 Depth=2
	scratch_load_b64 v[0:1], off, off offset:92 ; 8-byte Folded Reload
	s_wait_loadcnt 0x0
	v_lshl_add_u64 v[0:1], v[0:1], 3, v[72:73]
	global_load_b64 v[80:81], v[0:1], off
.LBB15_17:                              ;   in Loop: Header=BB15_7 Depth=2
	;; [unrolled: 26-line block ×6, first 2 shown]
	s_wait_xcnt 0x0
	s_or_b32 exec_lo, exec_lo, s17
	global_load_b64 v[122:123], v[10:11], off offset:104
	v_mov_b64_e32 v[120:121], 0
	v_mov_b64_e32 v[124:125], 0
	s_wait_xcnt 0x0
	s_and_saveexec_b32 s17, s44
	s_cbranch_execz .LBB15_35
; %bb.34:                               ;   in Loop: Header=BB15_7 Depth=2
	scratch_load_b64 v[0:1], off, off offset:116 ; 8-byte Folded Reload
	s_wait_loadcnt 0x0
	v_lshl_add_u64 v[0:1], v[0:1], 3, v[72:73]
	global_load_b64 v[124:125], v[0:1], off
.LBB15_35:                              ;   in Loop: Header=BB15_7 Depth=2
	s_wait_xcnt 0x0
	s_or_b32 exec_lo, exec_lo, s17
	global_load_b64 v[2:3], v[10:11], off offset:112
	s_wait_xcnt 0x0
	s_and_saveexec_b32 s17, s93
	s_cbranch_execz .LBB15_37
; %bb.36:                               ;   in Loop: Header=BB15_7 Depth=2
	v_lshl_add_u64 v[0:1], v[56:57], 3, v[72:73]
	global_load_b64 v[120:121], v[0:1], off
.LBB15_37:                              ;   in Loop: Header=BB15_7 Depth=2
	s_wait_xcnt 0x0
	s_or_b32 exec_lo, exec_lo, s17
	global_load_b64 v[14:15], v[10:11], off offset:120
	v_mov_b64_e32 v[12:13], 0
	v_mov_b64_e32 v[16:17], 0
	s_wait_xcnt 0x0
	s_and_saveexec_b32 s17, s66
	s_cbranch_execz .LBB15_39
; %bb.38:                               ;   in Loop: Header=BB15_7 Depth=2
	scratch_load_b64 v[0:1], off, off offset:76 ; 8-byte Folded Reload
	s_wait_loadcnt 0x0
	v_lshl_add_u64 v[0:1], v[0:1], 3, v[72:73]
	global_load_b64 v[16:17], v[0:1], off
.LBB15_39:                              ;   in Loop: Header=BB15_7 Depth=2
	s_wait_xcnt 0x0
	s_or_b32 exec_lo, exec_lo, s17
	global_load_b64 v[18:19], v[10:11], off offset:128
	s_wait_xcnt 0x0
	s_and_saveexec_b32 s17, s64
	s_cbranch_execz .LBB15_41
; %bb.40:                               ;   in Loop: Header=BB15_7 Depth=2
	scratch_load_b64 v[0:1], off, off offset:124 ; 8-byte Folded Reload
	s_wait_loadcnt 0x0
	v_lshl_add_u64 v[0:1], v[0:1], 3, v[72:73]
	global_load_b64 v[12:13], v[0:1], off
.LBB15_41:                              ;   in Loop: Header=BB15_7 Depth=2
	s_wait_xcnt 0x0
	s_or_b32 exec_lo, exec_lo, s17
	global_load_b64 v[20:21], v[10:11], off offset:136
	v_mov_b64_e32 v[0:1], 0
	v_mov_b64_e32 v[22:23], 0
	s_wait_xcnt 0x0
	s_and_saveexec_b32 s17, s28
	s_cbranch_execz .LBB15_43
; %bb.42:                               ;   in Loop: Header=BB15_7 Depth=2
	v_lshl_add_u64 v[8:9], v[58:59], 3, v[72:73]
	global_load_b64 v[22:23], v[8:9], off
.LBB15_43:                              ;   in Loop: Header=BB15_7 Depth=2
	s_wait_xcnt 0x0
	s_or_b32 exec_lo, exec_lo, s17
	global_load_b64 v[24:25], v[10:11], off offset:144
	s_wait_xcnt 0x0
	s_and_saveexec_b32 s17, s104
	s_cbranch_execz .LBB15_45
; %bb.44:                               ;   in Loop: Header=BB15_7 Depth=2
	scratch_load_b64 v[0:1], off, off offset:36 ; 8-byte Folded Reload
	s_wait_loadcnt 0x0
	v_lshl_add_u64 v[0:1], v[0:1], 3, v[72:73]
	global_load_b64 v[0:1], v[0:1], off
.LBB15_45:                              ;   in Loop: Header=BB15_7 Depth=2
	s_wait_xcnt 0x0
	s_or_b32 exec_lo, exec_lo, s17
	global_load_b64 v[28:29], v[10:11], off offset:152
	v_mov_b64_e32 v[26:27], 0
	v_mov_b64_e32 v[30:31], 0
	s_wait_xcnt 0x0
	s_and_saveexec_b32 s17, s65
	s_cbranch_execz .LBB15_47
; %bb.46:                               ;   in Loop: Header=BB15_7 Depth=2
	scratch_load_b64 v[8:9], off, off offset:132 ; 8-byte Folded Reload
	s_wait_loadcnt 0x0
	v_lshl_add_u64 v[8:9], v[8:9], 3, v[72:73]
	global_load_b64 v[30:31], v[8:9], off
.LBB15_47:                              ;   in Loop: Header=BB15_7 Depth=2
	s_wait_xcnt 0x0
	s_or_b32 exec_lo, exec_lo, s17
	global_load_b64 v[32:33], v[10:11], off offset:160
	s_wait_xcnt 0x0
	s_and_saveexec_b32 s17, s68
	s_cbranch_execz .LBB15_49
; %bb.48:                               ;   in Loop: Header=BB15_7 Depth=2
	v_lshl_add_u64 v[8:9], v[60:61], 3, v[72:73]
	global_load_b64 v[26:27], v[8:9], off
.LBB15_49:                              ;   in Loop: Header=BB15_7 Depth=2
	s_wait_xcnt 0x0
	s_or_b32 exec_lo, exec_lo, s17
	global_load_b64 v[36:37], v[10:11], off offset:168
	v_mov_b64_e32 v[34:35], 0
	v_mov_b64_e32 v[38:39], 0
	s_wait_xcnt 0x0
	s_and_saveexec_b32 s17, vcc_hi
	s_cbranch_execz .LBB15_51
; %bb.50:                               ;   in Loop: Header=BB15_7 Depth=2
	scratch_load_b64 v[8:9], off, off offset:44 ; 8-byte Folded Reload
	s_wait_loadcnt 0x0
	v_lshl_add_u64 v[8:9], v[8:9], 3, v[72:73]
	global_load_b64 v[38:39], v[8:9], off
.LBB15_51:                              ;   in Loop: Header=BB15_7 Depth=2
	s_wait_xcnt 0x0
	s_or_b32 exec_lo, exec_lo, s17
	global_load_b64 v[40:41], v[10:11], off offset:176
	s_wait_xcnt 0x0
	s_and_saveexec_b32 s17, s33
	s_cbranch_execz .LBB15_53
; %bb.52:                               ;   in Loop: Header=BB15_7 Depth=2
	scratch_load_b64 v[8:9], off, off offset:140 ; 8-byte Folded Reload
	s_wait_loadcnt 0x0
	v_lshl_add_u64 v[8:9], v[8:9], 3, v[72:73]
	global_load_b64 v[34:35], v[8:9], off
.LBB15_53:                              ;   in Loop: Header=BB15_7 Depth=2
	s_wait_xcnt 0x0
	s_or_b32 exec_lo, exec_lo, s17
	global_load_b64 v[44:45], v[10:11], off offset:184
	v_mov_b64_e32 v[42:43], 0
	v_mov_b64_e32 v[46:47], 0
	s_wait_xcnt 0x0
	s_and_saveexec_b32 s17, s69
	s_cbranch_execz .LBB15_55
; %bb.54:                               ;   in Loop: Header=BB15_7 Depth=2
	v_lshl_add_u64 v[8:9], v[62:63], 3, v[72:73]
	global_load_b64 v[46:47], v[8:9], off
.LBB15_55:                              ;   in Loop: Header=BB15_7 Depth=2
	s_wait_xcnt 0x0
	s_or_b32 exec_lo, exec_lo, s17
	global_load_b64 v[8:9], v[10:11], off offset:192
	s_wait_xcnt 0x0
	s_and_saveexec_b32 s17, s60
	s_cbranch_execz .LBB15_57
; %bb.56:                               ;   in Loop: Header=BB15_7 Depth=2
	scratch_load_b64 v[42:43], off, off offset:52 ; 8-byte Folded Reload
	s_wait_loadcnt 0x0
	v_lshl_add_u64 v[42:43], v[42:43], 3, v[72:73]
	global_load_b64 v[42:43], v[42:43], off
.LBB15_57:                              ;   in Loop: Header=BB15_7 Depth=2
	s_wait_xcnt 0x0
	s_or_b32 exec_lo, exec_lo, s17
	global_load_b64 v[50:51], v[10:11], off offset:200
	v_mov_b64_e32 v[48:49], 0
	v_mov_b64_e32 v[52:53], 0
	s_wait_xcnt 0x0
	s_and_saveexec_b32 s17, s83
	s_cbranch_execz .LBB15_59
; %bb.58:                               ;   in Loop: Header=BB15_7 Depth=2
	scratch_load_b64 v[52:53], off, off offset:148 ; 8-byte Folded Reload
	s_wait_loadcnt 0x0
	v_lshl_add_u64 v[52:53], v[52:53], 3, v[72:73]
	global_load_b64 v[52:53], v[52:53], off
.LBB15_59:                              ;   in Loop: Header=BB15_7 Depth=2
	s_wait_xcnt 0x0
	s_or_b32 exec_lo, exec_lo, s17
	global_load_b64 v[54:55], v[10:11], off offset:208
	s_wait_xcnt 0x0
	s_and_saveexec_b32 s17, s27
	s_cbranch_execz .LBB15_6
; %bb.60:                               ;   in Loop: Header=BB15_7 Depth=2
	v_lshl_add_u64 v[48:49], v[64:65], 3, v[72:73]
	global_load_b64 v[48:49], v[48:49], off
	s_branch .LBB15_6
.LBB15_61:                              ;   in Loop: Header=BB15_4 Depth=1
	v_mov_b64_e32 v[6:7], 0
	s_branch .LBB15_3
.LBB15_62:
	s_sendmsg sendmsg(MSG_DEALLOC_VGPRS)
	s_endpgm
	.section	.rodata,"a",@progbits
	.p2align	6, 0x0
	.amdhsa_kernel _ZN2at6native12_GLOBAL__N_143conv_depthwise3d_cuda_backward_input_kernelIddLi3ELi3ELi3ELin1ELin1ELin1ELin1ELin1ELin1EEEvN5torch10headeronly6detail27GenericPackedTensorAccessorINS5_14TensorAccessorIN3c108ArrayRefIlEEKT_Lm4ENS4_16DefaultPtrTraitsEiEENS_6detail16IndexBoundsCheckILm5EiEESC_Lm5ESD_iEENS6_INS7_ISA_SB_Lm4ESD_iEESH_SB_Lm5ESD_iEESI_iiiiiiiii
		.amdhsa_group_segment_fixed_size 0
		.amdhsa_private_segment_fixed_size 228
		.amdhsa_kernarg_size 440
		.amdhsa_user_sgpr_count 2
		.amdhsa_user_sgpr_dispatch_ptr 0
		.amdhsa_user_sgpr_queue_ptr 0
		.amdhsa_user_sgpr_kernarg_segment_ptr 1
		.amdhsa_user_sgpr_dispatch_id 0
		.amdhsa_user_sgpr_kernarg_preload_length 0
		.amdhsa_user_sgpr_kernarg_preload_offset 0
		.amdhsa_user_sgpr_private_segment_size 0
		.amdhsa_wavefront_size32 1
		.amdhsa_uses_dynamic_stack 0
		.amdhsa_enable_private_segment 1
		.amdhsa_system_sgpr_workgroup_id_x 1
		.amdhsa_system_sgpr_workgroup_id_y 0
		.amdhsa_system_sgpr_workgroup_id_z 0
		.amdhsa_system_sgpr_workgroup_info 0
		.amdhsa_system_vgpr_workitem_id 0
		.amdhsa_next_free_vgpr 128
		.amdhsa_next_free_sgpr 105
		.amdhsa_named_barrier_count 0
		.amdhsa_reserve_vcc 1
		.amdhsa_float_round_mode_32 0
		.amdhsa_float_round_mode_16_64 0
		.amdhsa_float_denorm_mode_32 3
		.amdhsa_float_denorm_mode_16_64 3
		.amdhsa_fp16_overflow 0
		.amdhsa_memory_ordered 1
		.amdhsa_forward_progress 1
		.amdhsa_inst_pref_size 60
		.amdhsa_round_robin_scheduling 0
		.amdhsa_exception_fp_ieee_invalid_op 0
		.amdhsa_exception_fp_denorm_src 0
		.amdhsa_exception_fp_ieee_div_zero 0
		.amdhsa_exception_fp_ieee_overflow 0
		.amdhsa_exception_fp_ieee_underflow 0
		.amdhsa_exception_fp_ieee_inexact 0
		.amdhsa_exception_int_div_zero 0
	.end_amdhsa_kernel
	.section	.text._ZN2at6native12_GLOBAL__N_143conv_depthwise3d_cuda_backward_input_kernelIddLi3ELi3ELi3ELin1ELin1ELin1ELin1ELin1ELin1EEEvN5torch10headeronly6detail27GenericPackedTensorAccessorINS5_14TensorAccessorIN3c108ArrayRefIlEEKT_Lm4ENS4_16DefaultPtrTraitsEiEENS_6detail16IndexBoundsCheckILm5EiEESC_Lm5ESD_iEENS6_INS7_ISA_SB_Lm4ESD_iEESH_SB_Lm5ESD_iEESI_iiiiiiiii,"axG",@progbits,_ZN2at6native12_GLOBAL__N_143conv_depthwise3d_cuda_backward_input_kernelIddLi3ELi3ELi3ELin1ELin1ELin1ELin1ELin1ELin1EEEvN5torch10headeronly6detail27GenericPackedTensorAccessorINS5_14TensorAccessorIN3c108ArrayRefIlEEKT_Lm4ENS4_16DefaultPtrTraitsEiEENS_6detail16IndexBoundsCheckILm5EiEESC_Lm5ESD_iEENS6_INS7_ISA_SB_Lm4ESD_iEESH_SB_Lm5ESD_iEESI_iiiiiiiii,comdat
.Lfunc_end15:
	.size	_ZN2at6native12_GLOBAL__N_143conv_depthwise3d_cuda_backward_input_kernelIddLi3ELi3ELi3ELin1ELin1ELin1ELin1ELin1ELin1EEEvN5torch10headeronly6detail27GenericPackedTensorAccessorINS5_14TensorAccessorIN3c108ArrayRefIlEEKT_Lm4ENS4_16DefaultPtrTraitsEiEENS_6detail16IndexBoundsCheckILm5EiEESC_Lm5ESD_iEENS6_INS7_ISA_SB_Lm4ESD_iEESH_SB_Lm5ESD_iEESI_iiiiiiiii, .Lfunc_end15-_ZN2at6native12_GLOBAL__N_143conv_depthwise3d_cuda_backward_input_kernelIddLi3ELi3ELi3ELin1ELin1ELin1ELin1ELin1ELin1EEEvN5torch10headeronly6detail27GenericPackedTensorAccessorINS5_14TensorAccessorIN3c108ArrayRefIlEEKT_Lm4ENS4_16DefaultPtrTraitsEiEENS_6detail16IndexBoundsCheckILm5EiEESC_Lm5ESD_iEENS6_INS7_ISA_SB_Lm4ESD_iEESH_SB_Lm5ESD_iEESI_iiiiiiiii
                                        ; -- End function
	.set _ZN2at6native12_GLOBAL__N_143conv_depthwise3d_cuda_backward_input_kernelIddLi3ELi3ELi3ELin1ELin1ELin1ELin1ELin1ELin1EEEvN5torch10headeronly6detail27GenericPackedTensorAccessorINS5_14TensorAccessorIN3c108ArrayRefIlEEKT_Lm4ENS4_16DefaultPtrTraitsEiEENS_6detail16IndexBoundsCheckILm5EiEESC_Lm5ESD_iEENS6_INS7_ISA_SB_Lm4ESD_iEESH_SB_Lm5ESD_iEESI_iiiiiiiii.num_vgpr, 128
	.set _ZN2at6native12_GLOBAL__N_143conv_depthwise3d_cuda_backward_input_kernelIddLi3ELi3ELi3ELin1ELin1ELin1ELin1ELin1ELin1EEEvN5torch10headeronly6detail27GenericPackedTensorAccessorINS5_14TensorAccessorIN3c108ArrayRefIlEEKT_Lm4ENS4_16DefaultPtrTraitsEiEENS_6detail16IndexBoundsCheckILm5EiEESC_Lm5ESD_iEENS6_INS7_ISA_SB_Lm4ESD_iEESH_SB_Lm5ESD_iEESI_iiiiiiiii.num_agpr, 0
	.set _ZN2at6native12_GLOBAL__N_143conv_depthwise3d_cuda_backward_input_kernelIddLi3ELi3ELi3ELin1ELin1ELin1ELin1ELin1ELin1EEEvN5torch10headeronly6detail27GenericPackedTensorAccessorINS5_14TensorAccessorIN3c108ArrayRefIlEEKT_Lm4ENS4_16DefaultPtrTraitsEiEENS_6detail16IndexBoundsCheckILm5EiEESC_Lm5ESD_iEENS6_INS7_ISA_SB_Lm4ESD_iEESH_SB_Lm5ESD_iEESI_iiiiiiiii.numbered_sgpr, 105
	.set _ZN2at6native12_GLOBAL__N_143conv_depthwise3d_cuda_backward_input_kernelIddLi3ELi3ELi3ELin1ELin1ELin1ELin1ELin1ELin1EEEvN5torch10headeronly6detail27GenericPackedTensorAccessorINS5_14TensorAccessorIN3c108ArrayRefIlEEKT_Lm4ENS4_16DefaultPtrTraitsEiEENS_6detail16IndexBoundsCheckILm5EiEESC_Lm5ESD_iEENS6_INS7_ISA_SB_Lm4ESD_iEESH_SB_Lm5ESD_iEESI_iiiiiiiii.num_named_barrier, 0
	.set _ZN2at6native12_GLOBAL__N_143conv_depthwise3d_cuda_backward_input_kernelIddLi3ELi3ELi3ELin1ELin1ELin1ELin1ELin1ELin1EEEvN5torch10headeronly6detail27GenericPackedTensorAccessorINS5_14TensorAccessorIN3c108ArrayRefIlEEKT_Lm4ENS4_16DefaultPtrTraitsEiEENS_6detail16IndexBoundsCheckILm5EiEESC_Lm5ESD_iEENS6_INS7_ISA_SB_Lm4ESD_iEESH_SB_Lm5ESD_iEESI_iiiiiiiii.private_seg_size, 228
	.set _ZN2at6native12_GLOBAL__N_143conv_depthwise3d_cuda_backward_input_kernelIddLi3ELi3ELi3ELin1ELin1ELin1ELin1ELin1ELin1EEEvN5torch10headeronly6detail27GenericPackedTensorAccessorINS5_14TensorAccessorIN3c108ArrayRefIlEEKT_Lm4ENS4_16DefaultPtrTraitsEiEENS_6detail16IndexBoundsCheckILm5EiEESC_Lm5ESD_iEENS6_INS7_ISA_SB_Lm4ESD_iEESH_SB_Lm5ESD_iEESI_iiiiiiiii.uses_vcc, 1
	.set _ZN2at6native12_GLOBAL__N_143conv_depthwise3d_cuda_backward_input_kernelIddLi3ELi3ELi3ELin1ELin1ELin1ELin1ELin1ELin1EEEvN5torch10headeronly6detail27GenericPackedTensorAccessorINS5_14TensorAccessorIN3c108ArrayRefIlEEKT_Lm4ENS4_16DefaultPtrTraitsEiEENS_6detail16IndexBoundsCheckILm5EiEESC_Lm5ESD_iEENS6_INS7_ISA_SB_Lm4ESD_iEESH_SB_Lm5ESD_iEESI_iiiiiiiii.uses_flat_scratch, 1
	.set _ZN2at6native12_GLOBAL__N_143conv_depthwise3d_cuda_backward_input_kernelIddLi3ELi3ELi3ELin1ELin1ELin1ELin1ELin1ELin1EEEvN5torch10headeronly6detail27GenericPackedTensorAccessorINS5_14TensorAccessorIN3c108ArrayRefIlEEKT_Lm4ENS4_16DefaultPtrTraitsEiEENS_6detail16IndexBoundsCheckILm5EiEESC_Lm5ESD_iEENS6_INS7_ISA_SB_Lm4ESD_iEESH_SB_Lm5ESD_iEESI_iiiiiiiii.has_dyn_sized_stack, 0
	.set _ZN2at6native12_GLOBAL__N_143conv_depthwise3d_cuda_backward_input_kernelIddLi3ELi3ELi3ELin1ELin1ELin1ELin1ELin1ELin1EEEvN5torch10headeronly6detail27GenericPackedTensorAccessorINS5_14TensorAccessorIN3c108ArrayRefIlEEKT_Lm4ENS4_16DefaultPtrTraitsEiEENS_6detail16IndexBoundsCheckILm5EiEESC_Lm5ESD_iEENS6_INS7_ISA_SB_Lm4ESD_iEESH_SB_Lm5ESD_iEESI_iiiiiiiii.has_recursion, 0
	.set _ZN2at6native12_GLOBAL__N_143conv_depthwise3d_cuda_backward_input_kernelIddLi3ELi3ELi3ELin1ELin1ELin1ELin1ELin1ELin1EEEvN5torch10headeronly6detail27GenericPackedTensorAccessorINS5_14TensorAccessorIN3c108ArrayRefIlEEKT_Lm4ENS4_16DefaultPtrTraitsEiEENS_6detail16IndexBoundsCheckILm5EiEESC_Lm5ESD_iEENS6_INS7_ISA_SB_Lm4ESD_iEESH_SB_Lm5ESD_iEESI_iiiiiiiii.has_indirect_call, 0
	.section	.AMDGPU.csdata,"",@progbits
; Kernel info:
; codeLenInByte = 7668
; TotalNumSgprs: 107
; NumVgprs: 128
; ScratchSize: 228
; MemoryBound: 0
; FloatMode: 240
; IeeeMode: 1
; LDSByteSize: 0 bytes/workgroup (compile time only)
; SGPRBlocks: 0
; VGPRBlocks: 7
; NumSGPRsForWavesPerEU: 107
; NumVGPRsForWavesPerEU: 128
; NamedBarCnt: 0
; Occupancy: 8
; WaveLimiterHint : 0
; COMPUTE_PGM_RSRC2:SCRATCH_EN: 1
; COMPUTE_PGM_RSRC2:USER_SGPR: 2
; COMPUTE_PGM_RSRC2:TRAP_HANDLER: 0
; COMPUTE_PGM_RSRC2:TGID_X_EN: 1
; COMPUTE_PGM_RSRC2:TGID_Y_EN: 0
; COMPUTE_PGM_RSRC2:TGID_Z_EN: 0
; COMPUTE_PGM_RSRC2:TIDIG_COMP_CNT: 0
	.section	.text._ZN2at6native12_GLOBAL__N_143conv_depthwise3d_cuda_backward_input_kernelIddLin1ELin1ELin1ELin1ELin1ELin1ELin1ELin1ELin1EEEvN5torch10headeronly6detail27GenericPackedTensorAccessorINS5_14TensorAccessorIN3c108ArrayRefIlEEKT_Lm4ENS4_16DefaultPtrTraitsEiEENS_6detail16IndexBoundsCheckILm5EiEESC_Lm5ESD_iEENS6_INS7_ISA_SB_Lm4ESD_iEESH_SB_Lm5ESD_iEESI_iiiiiiiii,"axG",@progbits,_ZN2at6native12_GLOBAL__N_143conv_depthwise3d_cuda_backward_input_kernelIddLin1ELin1ELin1ELin1ELin1ELin1ELin1ELin1ELin1EEEvN5torch10headeronly6detail27GenericPackedTensorAccessorINS5_14TensorAccessorIN3c108ArrayRefIlEEKT_Lm4ENS4_16DefaultPtrTraitsEiEENS_6detail16IndexBoundsCheckILm5EiEESC_Lm5ESD_iEENS6_INS7_ISA_SB_Lm4ESD_iEESH_SB_Lm5ESD_iEESI_iiiiiiiii,comdat
	.globl	_ZN2at6native12_GLOBAL__N_143conv_depthwise3d_cuda_backward_input_kernelIddLin1ELin1ELin1ELin1ELin1ELin1ELin1ELin1ELin1EEEvN5torch10headeronly6detail27GenericPackedTensorAccessorINS5_14TensorAccessorIN3c108ArrayRefIlEEKT_Lm4ENS4_16DefaultPtrTraitsEiEENS_6detail16IndexBoundsCheckILm5EiEESC_Lm5ESD_iEENS6_INS7_ISA_SB_Lm4ESD_iEESH_SB_Lm5ESD_iEESI_iiiiiiiii ; -- Begin function _ZN2at6native12_GLOBAL__N_143conv_depthwise3d_cuda_backward_input_kernelIddLin1ELin1ELin1ELin1ELin1ELin1ELin1ELin1ELin1EEEvN5torch10headeronly6detail27GenericPackedTensorAccessorINS5_14TensorAccessorIN3c108ArrayRefIlEEKT_Lm4ENS4_16DefaultPtrTraitsEiEENS_6detail16IndexBoundsCheckILm5EiEESC_Lm5ESD_iEENS6_INS7_ISA_SB_Lm4ESD_iEESH_SB_Lm5ESD_iEESI_iiiiiiiii
	.p2align	8
	.type	_ZN2at6native12_GLOBAL__N_143conv_depthwise3d_cuda_backward_input_kernelIddLin1ELin1ELin1ELin1ELin1ELin1ELin1ELin1ELin1EEEvN5torch10headeronly6detail27GenericPackedTensorAccessorINS5_14TensorAccessorIN3c108ArrayRefIlEEKT_Lm4ENS4_16DefaultPtrTraitsEiEENS_6detail16IndexBoundsCheckILm5EiEESC_Lm5ESD_iEENS6_INS7_ISA_SB_Lm4ESD_iEESH_SB_Lm5ESD_iEESI_iiiiiiiii,@function
_ZN2at6native12_GLOBAL__N_143conv_depthwise3d_cuda_backward_input_kernelIddLin1ELin1ELin1ELin1ELin1ELin1ELin1ELin1ELin1EEEvN5torch10headeronly6detail27GenericPackedTensorAccessorINS5_14TensorAccessorIN3c108ArrayRefIlEEKT_Lm4ENS4_16DefaultPtrTraitsEiEENS_6detail16IndexBoundsCheckILm5EiEESC_Lm5ESD_iEENS6_INS7_ISA_SB_Lm4ESD_iEESH_SB_Lm5ESD_iEESI_iiiiiiiii: ; @_ZN2at6native12_GLOBAL__N_143conv_depthwise3d_cuda_backward_input_kernelIddLin1ELin1ELin1ELin1ELin1ELin1ELin1ELin1ELin1EEEvN5torch10headeronly6detail27GenericPackedTensorAccessorINS5_14TensorAccessorIN3c108ArrayRefIlEEKT_Lm4ENS4_16DefaultPtrTraitsEiEENS_6detail16IndexBoundsCheckILm5EiEESC_Lm5ESD_iEENS6_INS7_ISA_SB_Lm4ESD_iEESH_SB_Lm5ESD_iEESI_iiiiiiiii
; %bb.0:
	s_clause 0x1
	s_load_b128 s[16:19], s[0:1], 0x38
	s_load_b32 s2, s[0:1], 0xc4
	s_bfe_u32 s3, ttmp6, 0x4000c
	s_load_b64 s[6:7], s[0:1], 0x48
	s_add_co_i32 s3, s3, 1
	s_and_b32 s4, ttmp6, 15
	s_mul_i32 s3, ttmp9, s3
	s_getreg_b32 s5, hwreg(HW_REG_IB_STS2, 6, 4)
	v_mov_b32_e32 v1, 0
	s_add_co_i32 s4, s4, s3
	s_mov_b32 s37, 0
	s_wait_kmcnt 0x0
	s_abs_i32 s33, s17
	s_and_b32 s2, s2, 0xffff
	s_cmp_eq_u32 s5, 0
	s_mul_i32 s34, s7, s16
	s_cselect_b32 s3, ttmp9, s4
	s_ashr_i32 s35, s34, 31
	v_mad_nc_u64_u32 v[2:3], s2, s3, v[0:1]
	s_cvt_f32_u32 s3, s33
	s_mov_b32 s4, exec_lo
	s_delay_alu instid0(SALU_CYCLE_2) | instskip(SKIP_1) | instid1(TRANS32_DEP_1)
	v_rcp_iflag_f32_e32 v0, s3
	v_nop
	v_readfirstlane_b32 s3, v0
	s_delay_alu instid0(VALU_DEP_3)
	v_cmpx_gt_i64_e64 s[34:35], v[2:3]
	s_cbranch_execz .LBB16_19
; %bb.1:
	s_clause 0x1
	s_load_b128 s[20:23], s[0:1], 0xc
	s_load_b64 s[38:39], s[0:1], 0x0
	s_mul_f32 s3, s3, 0x4f7ffffe
	s_sub_co_i32 s52, 0, s33
	s_mov_b32 s5, s37
	s_load_b128 s[24:27], s[0:1], 0x70
	s_cvt_u32_f32 s3, s3
	s_ashr_i32 s16, s17, 31
	s_add_nc_u64 s[28:29], s[0:1], 0xb8
	s_clause 0x1
	s_load_b64 s[40:41], s[0:1], 0x1c
	s_load_b64 s[42:43], s[0:1], 0x30
	s_mul_i32 s4, s52, s3
	s_load_b256 s[8:15], s[0:1], 0x90
	s_mul_hi_u32 s4, s3, s4
	s_mov_b32 s47, s37
	s_add_co_i32 s4, s3, s4
	s_mov_b32 s49, s37
	s_mov_b32 s51, s37
	;; [unrolled: 1-line block ×5, first 2 shown]
	s_wait_kmcnt 0x0
	s_abs_i32 s36, s20
	s_ashr_i32 s3, s20, 31
	s_mul_u64 s[4:5], s[36:37], s[4:5]
	s_xor_b32 s3, s3, s16
	s_mul_i32 s4, s5, s33
	s_add_co_i32 s30, s5, 1
	s_sub_co_i32 s4, s36, s4
	s_load_b32 s20, s[0:1], 0xb0
	s_sub_co_i32 s31, s4, s33
	s_cmp_ge_u32 s4, s33
	s_mov_b32 s59, s37
	s_cselect_b32 s5, s30, s5
	s_cselect_b32 s4, s31, s4
	s_add_co_i32 s30, s5, 1
	s_cmp_ge_u32 s4, s33
	s_mov_b32 s77, s37
	s_cselect_b32 s4, s30, s5
	s_load_b32 s5, s[28:29], 0x0
	s_xor_b32 s4, s4, s3
	s_load_b64 s[44:45], s[0:1], 0x60
	s_wait_xcnt 0x0
	s_load_b128 s[28:31], s[0:1], 0x50
	s_sub_co_i32 s60, s4, s3
	s_cmp_gt_i32 s24, 0
	s_wait_xcnt 0x0
	v_readfirstlane_b32 s0, v0
	s_cselect_b32 s61, -1, 0
	s_cmp_gt_i32 s25, 0
	s_cselect_b32 s62, -1, 0
	s_cmp_gt_i32 s26, 0
	s_mul_f32 s0, s0, 0x4f7ffffe
	s_cselect_b32 s63, -1, 0
	s_cmp_gt_i32 s60, 0
	s_cselect_b32 s64, -1, 0
	s_abs_i32 s66, s19
	s_abs_i32 s65, s6
	s_cvt_f32_u32 s3, s66
	s_cvt_f32_u32 s1, s65
	s_abs_i32 s67, s18
	s_wait_kmcnt 0x0
	s_mul_i32 s36, s5, s2
	v_rcp_iflag_f32_e32 v4, s3
	v_rcp_iflag_f32_e32 v0, s1
	s_cvt_f32_u32 s2, s67
	s_abs_i32 s70, s8
	s_sub_co_i32 s4, 0, s66
	s_cvt_f32_u32 s46, s70
	v_rcp_iflag_f32_e32 v5, s2
	v_readfirstlane_b32 s3, v4
	v_readfirstlane_b32 s2, v0
	v_rcp_iflag_f32_e32 v0, s46
	s_sub_co_i32 s1, 0, s65
	s_abs_i32 s72, s9
	s_mul_f32 s3, s3, 0x4f7ffffe
	v_readfirstlane_b32 s5, v5
	s_mul_f32 s2, s2, 0x4f7ffffe
	s_sub_co_i32 s50, 0, s67
	s_cvt_u32_f32 s3, s3
	s_cvt_u32_f32 s0, s0
	;; [unrolled: 1-line block ×3, first 2 shown]
	s_mul_f32 s5, s5, 0x4f7ffffe
	s_mul_i32 s4, s4, s3
	s_abs_i32 s73, s10
	s_mul_i32 s1, s1, s2
	s_mul_hi_u32 s4, s3, s4
	s_cvt_u32_f32 s5, s5
	s_mul_hi_u32 s1, s2, s1
	s_add_co_i32 s48, s3, s4
	s_cvt_f32_u32 s3, s72
	s_add_co_i32 s46, s2, s1
	v_readfirstlane_b32 s2, v0
	s_mul_i32 s50, s50, s5
	v_rcp_iflag_f32_e32 v0, s3
	s_mul_hi_u32 s1, s5, s50
	s_mul_i32 s52, s52, s0
	s_add_co_i32 s50, s5, s1
	s_mul_f32 s1, s2, 0x4f7ffffe
	s_cvt_f32_u32 s3, s73
	s_mul_hi_u32 s2, s0, s52
	s_ashr_i32 s68, s6, 31
	s_add_co_i32 s52, s0, s2
	s_cvt_u32_f32 s0, s1
	v_nop
	v_readfirstlane_b32 s1, v0
	v_rcp_iflag_f32_e32 v0, s3
	s_sub_co_i32 s2, 0, s70
	s_ashr_i32 s69, s19, 31
	s_mul_i32 s2, s2, s0
	s_mul_f32 s1, s1, 0x4f7ffffe
	s_mul_hi_u32 s2, s0, s2
	s_ashr_i32 s71, s18, 31
	v_nop
	v_readfirstlane_b32 s3, v0
	s_add_co_i32 s54, s0, s2
	s_cvt_u32_f32 s0, s1
	s_sub_co_i32 s1, 0, s72
	s_ashr_i32 s74, s8, 31
	s_mul_f32 s2, s3, 0x4f7ffffe
	s_mul_i32 s1, s1, s0
	s_ashr_i32 s75, s9, 31
	s_mul_hi_u32 s1, s0, s1
	s_cvt_u32_f32 s2, s2
	s_add_co_i32 s56, s0, s1
	s_sub_co_i32 s0, 0, s73
	s_ashr_i32 s76, s10, 31
	s_mul_i32 s0, s0, s2
	s_delay_alu instid0(SALU_CYCLE_1) | instskip(NEXT) | instid1(SALU_CYCLE_1)
	s_mul_hi_u32 s0, s2, s0
	s_add_co_i32 s58, s2, s0
	s_branch .LBB16_4
.LBB16_2:                               ;   in Loop: Header=BB16_4 Depth=1
	s_or_b32 exec_lo, exec_lo, s78
.LBB16_3:                               ;   in Loop: Header=BB16_4 Depth=1
	v_mul_lo_u32 v6, v19, s7
	v_mul_lo_u32 v8, s28, v20
	;; [unrolled: 1-line block ×5, first 2 shown]
	v_add_nc_u64_e32 v[2:3], s[36:37], v[2:3]
	v_dual_ashrrev_i32 v7, 31, v6 :: v_dual_ashrrev_i32 v9, 31, v8
	s_delay_alu instid0(VALU_DEP_4) | instskip(NEXT) | instid1(VALU_DEP_4)
	v_dual_ashrrev_i32 v11, 31, v10 :: v_dual_ashrrev_i32 v13, 31, v12
	v_ashrrev_i32_e32 v15, 31, v14
	s_delay_alu instid0(VALU_DEP_3) | instskip(SKIP_1) | instid1(VALU_DEP_2)
	v_lshl_add_u64 v[6:7], v[6:7], 3, s[42:43]
	v_cmp_le_i64_e32 vcc_lo, s[34:35], v[2:3]
	v_lshl_add_u64 v[6:7], v[8:9], 3, v[6:7]
	s_or_b32 s77, vcc_lo, s77
	s_delay_alu instid0(VALU_DEP_1) | instskip(NEXT) | instid1(VALU_DEP_1)
	v_lshl_add_u64 v[6:7], v[10:11], 3, v[6:7]
	v_lshl_add_u64 v[6:7], v[12:13], 3, v[6:7]
	s_delay_alu instid0(VALU_DEP_1)
	v_lshl_add_u64 v[6:7], v[14:15], 3, v[6:7]
	global_store_b64 v[6:7], v[4:5], off
	s_wait_xcnt 0x0
	s_and_not1_b32 exec_lo, exec_lo, s77
	s_cbranch_execz .LBB16_19
.LBB16_4:                               ; =>This Loop Header: Depth=1
                                        ;     Child Loop BB16_7 Depth 2
                                        ;       Child Loop BB16_10 Depth 3
                                        ;         Child Loop BB16_13 Depth 4
                                        ;           Child Loop BB16_16 Depth 5
	v_sub_nc_u32_e32 v0, 0, v2
	s_delay_alu instid0(VALU_DEP_1) | instskip(NEXT) | instid1(VALU_DEP_1)
	v_max_i32_e32 v0, v2, v0
	v_mul_u64_e32 v[4:5], s[46:47], v[0:1]
	s_delay_alu instid0(VALU_DEP_1) | instskip(NEXT) | instid1(VALU_DEP_1)
	v_mul_lo_u32 v4, v5, s65
	v_dual_sub_nc_u32 v0, v0, v4 :: v_dual_add_nc_u32 v4, 1, v5
	s_delay_alu instid0(VALU_DEP_1) | instskip(NEXT) | instid1(VALU_DEP_2)
	v_cmp_le_u32_e32 vcc_lo, s65, v0
	v_cndmask_b32_e32 v4, v5, v4, vcc_lo
	v_subrev_nc_u32_e32 v6, s65, v0
	v_ashrrev_i32_e32 v5, 31, v2
	s_delay_alu instid0(VALU_DEP_2) | instskip(NEXT) | instid1(VALU_DEP_1)
	v_dual_cndmask_b32 v0, v0, v6, vcc_lo :: v_dual_add_nc_u32 v6, 1, v4
	v_cmp_le_u32_e32 vcc_lo, s65, v0
	s_delay_alu instid0(VALU_DEP_2) | instskip(NEXT) | instid1(VALU_DEP_1)
	v_dual_cndmask_b32 v0, v4, v6, vcc_lo :: v_dual_bitop2_b32 v5, s68, v5 bitop3:0x14
	v_xor_b32_e32 v0, v0, v5
	s_delay_alu instid0(VALU_DEP_1) | instskip(NEXT) | instid1(VALU_DEP_1)
	v_sub_nc_u32_e32 v6, v0, v5
	v_sub_nc_u32_e32 v0, 0, v6
	s_delay_alu instid0(VALU_DEP_1) | instskip(NEXT) | instid1(VALU_DEP_1)
	v_max_i32_e32 v0, v6, v0
	v_mul_u64_e32 v[4:5], s[48:49], v[0:1]
	s_delay_alu instid0(VALU_DEP_1) | instskip(NEXT) | instid1(VALU_DEP_1)
	v_mul_lo_u32 v4, v5, s66
	v_dual_sub_nc_u32 v0, v0, v4 :: v_dual_add_nc_u32 v4, 1, v5
	s_delay_alu instid0(VALU_DEP_1) | instskip(SKIP_1) | instid1(VALU_DEP_2)
	v_subrev_nc_u32_e32 v7, s66, v0
	v_cmp_le_u32_e32 vcc_lo, s66, v0
	v_dual_cndmask_b32 v4, v5, v4, vcc_lo :: v_dual_cndmask_b32 v0, v0, v7, vcc_lo
	s_delay_alu instid0(VALU_DEP_1) | instskip(NEXT) | instid1(VALU_DEP_2)
	v_dual_ashrrev_i32 v5, 31, v6 :: v_dual_add_nc_u32 v7, 1, v4
	v_cmp_le_u32_e32 vcc_lo, s66, v0
	s_delay_alu instid0(VALU_DEP_2) | instskip(NEXT) | instid1(VALU_DEP_1)
	v_dual_cndmask_b32 v0, v4, v7, vcc_lo :: v_dual_bitop2_b32 v5, s69, v5 bitop3:0x14
	v_xor_b32_e32 v0, v0, v5
	s_delay_alu instid0(VALU_DEP_1) | instskip(NEXT) | instid1(VALU_DEP_1)
	v_sub_nc_u32_e32 v7, v0, v5
	v_sub_nc_u32_e32 v0, 0, v7
	s_delay_alu instid0(VALU_DEP_1) | instskip(NEXT) | instid1(VALU_DEP_1)
	v_max_i32_e32 v0, v7, v0
	v_mul_u64_e32 v[4:5], s[50:51], v[0:1]
	s_delay_alu instid0(VALU_DEP_1) | instskip(NEXT) | instid1(VALU_DEP_1)
	v_mul_lo_u32 v4, v5, s67
	v_dual_sub_nc_u32 v0, v0, v4 :: v_dual_add_nc_u32 v4, 1, v5
	s_delay_alu instid0(VALU_DEP_1) | instskip(SKIP_1) | instid1(VALU_DEP_3)
	v_subrev_nc_u32_e32 v8, s67, v0
	v_cmp_le_u32_e32 vcc_lo, s67, v0
	v_dual_cndmask_b32 v4, v5, v4 :: v_dual_ashrrev_i32 v5, 31, v7
	s_delay_alu instid0(VALU_DEP_1) | instskip(NEXT) | instid1(VALU_DEP_2)
	v_dual_cndmask_b32 v0, v0, v8, vcc_lo :: v_dual_bitop2_b32 v5, s71, v5 bitop3:0x14
	v_add_nc_u32_e32 v8, 1, v4
	s_delay_alu instid0(VALU_DEP_2) | instskip(NEXT) | instid1(VALU_DEP_2)
	v_cmp_le_u32_e32 vcc_lo, s67, v0
	v_cndmask_b32_e32 v0, v4, v8, vcc_lo
	s_delay_alu instid0(VALU_DEP_1) | instskip(NEXT) | instid1(VALU_DEP_1)
	v_xor_b32_e32 v0, v0, v5
	v_sub_nc_u32_e32 v8, v0, v5
	s_delay_alu instid0(VALU_DEP_1) | instskip(NEXT) | instid1(VALU_DEP_1)
	v_sub_nc_u32_e32 v0, 0, v8
	v_max_i32_e32 v0, v8, v0
	s_delay_alu instid0(VALU_DEP_1) | instskip(NEXT) | instid1(VALU_DEP_1)
	v_mul_u64_e32 v[4:5], s[52:53], v[0:1]
	v_mul_lo_u32 v4, v5, s33
	s_delay_alu instid0(VALU_DEP_1) | instskip(NEXT) | instid1(VALU_DEP_1)
	v_dual_sub_nc_u32 v0, v0, v4 :: v_dual_add_nc_u32 v4, 1, v5
	v_subrev_nc_u32_e32 v9, s33, v0
	v_cmp_le_u32_e32 vcc_lo, s33, v0
	s_delay_alu instid0(VALU_DEP_2) | instskip(SKIP_1) | instid1(VALU_DEP_2)
	v_dual_cndmask_b32 v4, v5, v4, vcc_lo :: v_dual_cndmask_b32 v0, v0, v9, vcc_lo
	v_ashrrev_i32_e32 v5, 31, v8
	v_add_nc_u32_e32 v9, 1, v4
	s_delay_alu instid0(VALU_DEP_3) | instskip(NEXT) | instid1(VALU_DEP_3)
	v_cmp_le_u32_e32 vcc_lo, s33, v0
	v_xor_b32_e32 v5, s16, v5
	s_delay_alu instid0(VALU_DEP_3) | instskip(SKIP_2) | instid1(VALU_DEP_1)
	v_cndmask_b32_e32 v0, v4, v9, vcc_lo
	v_mul_lo_u32 v4, v7, s19
	s_and_not1_b32 vcc_lo, exec_lo, s64
	v_dual_sub_nc_u32 v17, v6, v4 :: v_dual_bitop2_b32 v0, v0, v5 bitop3:0x14
	s_delay_alu instid0(VALU_DEP_1) | instskip(SKIP_2) | instid1(VALU_DEP_2)
	v_sub_nc_u32_e32 v19, v0, v5
	v_mul_lo_u32 v0, v6, s6
	v_mul_lo_u32 v5, v8, s18
	v_sub_nc_u32_e32 v16, v2, v0
	s_delay_alu instid0(VALU_DEP_4) | instskip(NEXT) | instid1(VALU_DEP_3)
	v_mul_lo_u32 v9, v19, s17
	v_sub_nc_u32_e32 v18, v7, v5
	s_delay_alu instid0(VALU_DEP_2)
	v_sub_nc_u32_e32 v20, v8, v9
	s_cbranch_vccnz .LBB16_18
; %bb.5:                                ;   in Loop: Header=BB16_4 Depth=1
	s_delay_alu instid0(VALU_DEP_1)
	v_mul_lo_u32 v21, v20, s60
	v_mul_lo_u32 v8, s40, v19
	v_mov_b64_e32 v[4:5], 0
	v_dual_add_nc_u32 v22, s13, v16 :: v_dual_add_nc_u32 v23, s12, v17
	v_add_nc_u32_e32 v24, s11, v18
	s_mov_b32 s78, 0
	v_mul_lo_u32 v6, s27, v21
	v_dual_add_nc_u32 v25, s60, v21 :: v_dual_ashrrev_i32 v9, 31, v8
	s_delay_alu instid0(VALU_DEP_1) | instskip(NEXT) | instid1(VALU_DEP_3)
	v_lshl_add_u64 v[8:9], v[8:9], 3, s[38:39]
	v_ashrrev_i32_e32 v7, 31, v6
	s_delay_alu instid0(VALU_DEP_1)
	v_lshl_add_u64 v[6:7], v[6:7], 3, s[44:45]
	s_branch .LBB16_7
.LBB16_6:                               ;   in Loop: Header=BB16_7 Depth=2
	v_add_nc_u32_e32 v21, 1, v21
	s_delay_alu instid0(VALU_DEP_1) | instskip(SKIP_1) | instid1(SALU_CYCLE_1)
	v_cmp_ge_i32_e32 vcc_lo, v21, v25
	s_or_b32 s78, vcc_lo, s78
	s_and_not1_b32 exec_lo, exec_lo, s78
	s_cbranch_execz .LBB16_2
.LBB16_7:                               ;   Parent Loop BB16_4 Depth=1
                                        ; =>  This Loop Header: Depth=2
                                        ;       Child Loop BB16_10 Depth 3
                                        ;         Child Loop BB16_13 Depth 4
                                        ;           Child Loop BB16_16 Depth 5
	s_and_not1_b32 vcc_lo, exec_lo, s61
	s_cbranch_vccnz .LBB16_6
; %bb.8:                                ;   in Loop: Header=BB16_7 Depth=2
	v_mul_lo_u32 v10, s41, v21
	s_mov_b32 s79, 0
	s_delay_alu instid0(VALU_DEP_1) | instskip(NEXT) | instid1(VALU_DEP_1)
	v_ashrrev_i32_e32 v11, 31, v10
	v_lshl_add_u64 v[10:11], v[10:11], 3, v[8:9]
	s_branch .LBB16_10
.LBB16_9:                               ;   in Loop: Header=BB16_10 Depth=3
	s_add_co_i32 s79, s79, 1
	s_delay_alu instid0(SALU_CYCLE_1)
	s_cmp_eq_u32 s79, s24
	s_cbranch_scc1 .LBB16_6
.LBB16_10:                              ;   Parent Loop BB16_4 Depth=1
                                        ;     Parent Loop BB16_7 Depth=2
                                        ; =>    This Loop Header: Depth=3
                                        ;         Child Loop BB16_13 Depth 4
                                        ;           Child Loop BB16_16 Depth 5
	s_and_not1_b32 vcc_lo, exec_lo, s62
	s_cbranch_vccnz .LBB16_9
; %bb.11:                               ;   in Loop: Header=BB16_10 Depth=3
	s_mul_i32 s0, s14, s79
	s_mov_b32 s80, 0
	v_subrev_nc_u32_e32 v14, s0, v24
	s_delay_alu instid0(VALU_DEP_1) | instskip(NEXT) | instid1(VALU_DEP_1)
	v_sub_nc_u32_e32 v0, 0, v14
	v_max_i32_e32 v0, v14, v0
	s_delay_alu instid0(VALU_DEP_1) | instskip(NEXT) | instid1(VALU_DEP_1)
	v_mul_u64_e32 v[12:13], s[54:55], v[0:1]
	v_mul_lo_u32 v12, v13, s70
	s_delay_alu instid0(VALU_DEP_1) | instskip(NEXT) | instid1(VALU_DEP_1)
	v_dual_sub_nc_u32 v0, v0, v12 :: v_dual_add_nc_u32 v12, 1, v13
	v_cmp_le_u32_e32 vcc_lo, s70, v0
	s_delay_alu instid0(VALU_DEP_2) | instskip(SKIP_1) | instid1(VALU_DEP_1)
	v_cndmask_b32_e32 v12, v13, v12, vcc_lo
	v_subrev_nc_u32_e32 v15, s70, v0
	v_dual_cndmask_b32 v0, v0, v15 :: v_dual_ashrrev_i32 v13, 31, v14
	s_delay_alu instid0(VALU_DEP_3) | instskip(NEXT) | instid1(VALU_DEP_2)
	v_add_nc_u32_e32 v15, 1, v12
	v_cmp_le_u32_e32 vcc_lo, s70, v0
	s_delay_alu instid0(VALU_DEP_2) | instskip(NEXT) | instid1(VALU_DEP_1)
	v_dual_cndmask_b32 v0, v12, v15, vcc_lo :: v_dual_bitop2_b32 v13, s74, v13 bitop3:0x14
	v_xor_b32_e32 v0, v0, v13
	s_delay_alu instid0(VALU_DEP_1) | instskip(NEXT) | instid1(VALU_DEP_1)
	v_sub_nc_u32_e32 v0, v0, v13
	v_mul_lo_u32 v12, v0, s8
	v_mul_lo_u32 v26, v0, s22
	v_cmp_lt_i32_e64 s0, -1, v0
	v_cmp_gt_i32_e64 s1, s21, v0
	s_delay_alu instid0(VALU_DEP_4)
	v_cmp_eq_u32_e64 s2, v12, v14
	s_branch .LBB16_13
.LBB16_12:                              ;   in Loop: Header=BB16_13 Depth=4
	s_add_co_i32 s80, s80, 1
	s_delay_alu instid0(SALU_CYCLE_1)
	s_cmp_eq_u32 s80, s25
	s_cbranch_scc1 .LBB16_9
.LBB16_13:                              ;   Parent Loop BB16_4 Depth=1
                                        ;     Parent Loop BB16_7 Depth=2
                                        ;       Parent Loop BB16_10 Depth=3
                                        ; =>      This Loop Header: Depth=4
                                        ;           Child Loop BB16_16 Depth 5
	s_and_not1_b32 vcc_lo, exec_lo, s63
	s_cbranch_vccnz .LBB16_12
; %bb.14:                               ;   in Loop: Header=BB16_13 Depth=4
	s_mul_i32 s3, s15, s80
	s_mov_b32 s82, s26
	v_subrev_nc_u32_e32 v14, s3, v23
	s_delay_alu instid0(VALU_DEP_1) | instskip(NEXT) | instid1(VALU_DEP_1)
	v_dual_mov_b32 v28, v22 :: v_dual_sub_nc_u32 v0, 0, v14
	v_max_i32_e32 v0, v14, v0
	s_delay_alu instid0(VALU_DEP_1) | instskip(NEXT) | instid1(VALU_DEP_1)
	v_mul_u64_e32 v[12:13], s[56:57], v[0:1]
	v_mul_lo_u32 v12, v13, s72
	s_delay_alu instid0(VALU_DEP_1) | instskip(NEXT) | instid1(VALU_DEP_1)
	v_dual_sub_nc_u32 v0, v0, v12 :: v_dual_add_nc_u32 v12, 1, v13
	v_cmp_le_u32_e32 vcc_lo, s72, v0
	s_delay_alu instid0(VALU_DEP_2) | instskip(SKIP_1) | instid1(VALU_DEP_1)
	v_cndmask_b32_e32 v12, v13, v12, vcc_lo
	v_subrev_nc_u32_e32 v15, s72, v0
	v_dual_cndmask_b32 v0, v0, v15 :: v_dual_ashrrev_i32 v13, 31, v14
	s_delay_alu instid0(VALU_DEP_3) | instskip(NEXT) | instid1(VALU_DEP_2)
	v_add_nc_u32_e32 v15, 1, v12
	v_cmp_le_u32_e32 vcc_lo, s72, v0
	s_delay_alu instid0(VALU_DEP_2) | instskip(NEXT) | instid1(VALU_DEP_1)
	v_dual_cndmask_b32 v0, v12, v15, vcc_lo :: v_dual_bitop2_b32 v13, s75, v13 bitop3:0x14
	v_xor_b32_e32 v0, v0, v13
	s_delay_alu instid0(VALU_DEP_1) | instskip(NEXT) | instid1(VALU_DEP_1)
	v_sub_nc_u32_e32 v0, v0, v13
	v_mul_lo_u32 v12, v0, s9
	v_add_nc_u32_e32 v13, v0, v26
	v_cmp_gt_i32_e64 s3, s22, v0
	v_cmp_lt_i32_e32 vcc_lo, -1, v0
	s_delay_alu instid0(VALU_DEP_3)
	v_mul_lo_u32 v27, v13, s23
	v_cmp_eq_u32_e64 s4, v12, v14
	s_and_b32 s81, s2, s4
	s_branch .LBB16_16
.LBB16_15:                              ;   in Loop: Header=BB16_16 Depth=5
	s_wait_xcnt 0x0
	s_or_b32 exec_lo, exec_lo, s4
	s_wait_loadcnt 0x0
	v_fma_f64 v[12:13], v[12:13], v[14:15], v[4:5]
	v_mul_lo_u32 v0, v0, s10
	v_add_nc_u64_e32 v[6:7], 8, v[6:7]
	s_add_co_i32 s82, s82, -1
	s_delay_alu instid0(VALU_DEP_2)
	v_cmp_eq_u32_e64 s4, v28, v0
	v_subrev_nc_u32_e32 v28, s20, v28
	s_and_b32 s4, s81, s4
	s_cmp_eq_u32 s82, 0
	v_dual_cndmask_b32 v5, v5, v13, s4 :: v_dual_cndmask_b32 v4, v4, v12, s4
	s_cbranch_scc1 .LBB16_12
.LBB16_16:                              ;   Parent Loop BB16_4 Depth=1
                                        ;     Parent Loop BB16_7 Depth=2
                                        ;       Parent Loop BB16_10 Depth=3
                                        ;         Parent Loop BB16_13 Depth=4
                                        ; =>        This Inner Loop Header: Depth=5
	global_load_b64 v[12:13], v[6:7], off
	v_sub_nc_u32_e32 v0, 0, v28
	s_delay_alu instid0(VALU_DEP_1) | instskip(NEXT) | instid1(VALU_DEP_1)
	v_max_i32_e32 v0, v28, v0
	v_mul_u64_e32 v[14:15], s[58:59], v[0:1]
	s_delay_alu instid0(VALU_DEP_1) | instskip(NEXT) | instid1(VALU_DEP_1)
	v_mul_lo_u32 v14, v15, s73
	v_dual_sub_nc_u32 v0, v0, v14 :: v_dual_add_nc_u32 v14, 1, v15
	s_delay_alu instid0(VALU_DEP_1) | instskip(NEXT) | instid1(VALU_DEP_1)
	v_cmp_le_u32_e64 s4, s73, v0
	v_dual_cndmask_b32 v14, v15, v14, s4 :: v_dual_ashrrev_i32 v15, 31, v28
	v_subrev_nc_u32_e32 v29, s73, v0
	s_delay_alu instid0(VALU_DEP_1) | instskip(NEXT) | instid1(VALU_DEP_1)
	v_dual_cndmask_b32 v0, v0, v29, s4 :: v_dual_add_nc_u32 v29, 1, v14
	v_cmp_le_u32_e64 s4, s73, v0
	s_delay_alu instid0(VALU_DEP_1) | instskip(NEXT) | instid1(VALU_DEP_1)
	v_dual_cndmask_b32 v0, v14, v29, s4 :: v_dual_bitop2_b32 v15, s76, v15 bitop3:0x14
	v_xor_b32_e32 v0, v0, v15
	s_delay_alu instid0(VALU_DEP_1) | instskip(SKIP_1) | instid1(VALU_DEP_2)
	v_sub_nc_u32_e32 v0, v0, v15
	v_mov_b64_e32 v[14:15], 0
	v_cmp_lt_i32_e64 s4, -1, v0
	v_cmp_gt_i32_e64 s5, s23, v0
	s_and_b32 s4, s4, vcc_lo
	s_delay_alu instid0(SALU_CYCLE_1) | instskip(NEXT) | instid1(SALU_CYCLE_1)
	s_and_b32 s4, s4, s0
	s_and_b32 s4, s5, s4
	s_delay_alu instid0(SALU_CYCLE_1) | instskip(NEXT) | instid1(SALU_CYCLE_1)
	s_and_b32 s4, s4, s3
	s_and_b32 s5, s4, s1
	s_wait_xcnt 0x0
	s_and_saveexec_b32 s4, s5
	s_cbranch_execz .LBB16_15
; %bb.17:                               ;   in Loop: Header=BB16_16 Depth=5
	v_add_nc_u32_e32 v14, v0, v27
	s_delay_alu instid0(VALU_DEP_1) | instskip(NEXT) | instid1(VALU_DEP_1)
	v_ashrrev_i32_e32 v15, 31, v14
	v_lshl_add_u64 v[14:15], v[14:15], 3, v[10:11]
	global_load_b64 v[14:15], v[14:15], off
	s_branch .LBB16_15
.LBB16_18:                              ;   in Loop: Header=BB16_4 Depth=1
	v_mov_b64_e32 v[4:5], 0
	s_branch .LBB16_3
.LBB16_19:
	s_endpgm
	.section	.rodata,"a",@progbits
	.p2align	6, 0x0
	.amdhsa_kernel _ZN2at6native12_GLOBAL__N_143conv_depthwise3d_cuda_backward_input_kernelIddLin1ELin1ELin1ELin1ELin1ELin1ELin1ELin1ELin1EEEvN5torch10headeronly6detail27GenericPackedTensorAccessorINS5_14TensorAccessorIN3c108ArrayRefIlEEKT_Lm4ENS4_16DefaultPtrTraitsEiEENS_6detail16IndexBoundsCheckILm5EiEESC_Lm5ESD_iEENS6_INS7_ISA_SB_Lm4ESD_iEESH_SB_Lm5ESD_iEESI_iiiiiiiii
		.amdhsa_group_segment_fixed_size 0
		.amdhsa_private_segment_fixed_size 0
		.amdhsa_kernarg_size 440
		.amdhsa_user_sgpr_count 2
		.amdhsa_user_sgpr_dispatch_ptr 0
		.amdhsa_user_sgpr_queue_ptr 0
		.amdhsa_user_sgpr_kernarg_segment_ptr 1
		.amdhsa_user_sgpr_dispatch_id 0
		.amdhsa_user_sgpr_kernarg_preload_length 0
		.amdhsa_user_sgpr_kernarg_preload_offset 0
		.amdhsa_user_sgpr_private_segment_size 0
		.amdhsa_wavefront_size32 1
		.amdhsa_uses_dynamic_stack 0
		.amdhsa_enable_private_segment 0
		.amdhsa_system_sgpr_workgroup_id_x 1
		.amdhsa_system_sgpr_workgroup_id_y 0
		.amdhsa_system_sgpr_workgroup_id_z 0
		.amdhsa_system_sgpr_workgroup_info 0
		.amdhsa_system_vgpr_workitem_id 0
		.amdhsa_next_free_vgpr 30
		.amdhsa_next_free_sgpr 83
		.amdhsa_named_barrier_count 0
		.amdhsa_reserve_vcc 1
		.amdhsa_float_round_mode_32 0
		.amdhsa_float_round_mode_16_64 0
		.amdhsa_float_denorm_mode_32 3
		.amdhsa_float_denorm_mode_16_64 3
		.amdhsa_fp16_overflow 0
		.amdhsa_memory_ordered 1
		.amdhsa_forward_progress 1
		.amdhsa_inst_pref_size 18
		.amdhsa_round_robin_scheduling 0
		.amdhsa_exception_fp_ieee_invalid_op 0
		.amdhsa_exception_fp_denorm_src 0
		.amdhsa_exception_fp_ieee_div_zero 0
		.amdhsa_exception_fp_ieee_overflow 0
		.amdhsa_exception_fp_ieee_underflow 0
		.amdhsa_exception_fp_ieee_inexact 0
		.amdhsa_exception_int_div_zero 0
	.end_amdhsa_kernel
	.section	.text._ZN2at6native12_GLOBAL__N_143conv_depthwise3d_cuda_backward_input_kernelIddLin1ELin1ELin1ELin1ELin1ELin1ELin1ELin1ELin1EEEvN5torch10headeronly6detail27GenericPackedTensorAccessorINS5_14TensorAccessorIN3c108ArrayRefIlEEKT_Lm4ENS4_16DefaultPtrTraitsEiEENS_6detail16IndexBoundsCheckILm5EiEESC_Lm5ESD_iEENS6_INS7_ISA_SB_Lm4ESD_iEESH_SB_Lm5ESD_iEESI_iiiiiiiii,"axG",@progbits,_ZN2at6native12_GLOBAL__N_143conv_depthwise3d_cuda_backward_input_kernelIddLin1ELin1ELin1ELin1ELin1ELin1ELin1ELin1ELin1EEEvN5torch10headeronly6detail27GenericPackedTensorAccessorINS5_14TensorAccessorIN3c108ArrayRefIlEEKT_Lm4ENS4_16DefaultPtrTraitsEiEENS_6detail16IndexBoundsCheckILm5EiEESC_Lm5ESD_iEENS6_INS7_ISA_SB_Lm4ESD_iEESH_SB_Lm5ESD_iEESI_iiiiiiiii,comdat
.Lfunc_end16:
	.size	_ZN2at6native12_GLOBAL__N_143conv_depthwise3d_cuda_backward_input_kernelIddLin1ELin1ELin1ELin1ELin1ELin1ELin1ELin1ELin1EEEvN5torch10headeronly6detail27GenericPackedTensorAccessorINS5_14TensorAccessorIN3c108ArrayRefIlEEKT_Lm4ENS4_16DefaultPtrTraitsEiEENS_6detail16IndexBoundsCheckILm5EiEESC_Lm5ESD_iEENS6_INS7_ISA_SB_Lm4ESD_iEESH_SB_Lm5ESD_iEESI_iiiiiiiii, .Lfunc_end16-_ZN2at6native12_GLOBAL__N_143conv_depthwise3d_cuda_backward_input_kernelIddLin1ELin1ELin1ELin1ELin1ELin1ELin1ELin1ELin1EEEvN5torch10headeronly6detail27GenericPackedTensorAccessorINS5_14TensorAccessorIN3c108ArrayRefIlEEKT_Lm4ENS4_16DefaultPtrTraitsEiEENS_6detail16IndexBoundsCheckILm5EiEESC_Lm5ESD_iEENS6_INS7_ISA_SB_Lm4ESD_iEESH_SB_Lm5ESD_iEESI_iiiiiiiii
                                        ; -- End function
	.set _ZN2at6native12_GLOBAL__N_143conv_depthwise3d_cuda_backward_input_kernelIddLin1ELin1ELin1ELin1ELin1ELin1ELin1ELin1ELin1EEEvN5torch10headeronly6detail27GenericPackedTensorAccessorINS5_14TensorAccessorIN3c108ArrayRefIlEEKT_Lm4ENS4_16DefaultPtrTraitsEiEENS_6detail16IndexBoundsCheckILm5EiEESC_Lm5ESD_iEENS6_INS7_ISA_SB_Lm4ESD_iEESH_SB_Lm5ESD_iEESI_iiiiiiiii.num_vgpr, 30
	.set _ZN2at6native12_GLOBAL__N_143conv_depthwise3d_cuda_backward_input_kernelIddLin1ELin1ELin1ELin1ELin1ELin1ELin1ELin1ELin1EEEvN5torch10headeronly6detail27GenericPackedTensorAccessorINS5_14TensorAccessorIN3c108ArrayRefIlEEKT_Lm4ENS4_16DefaultPtrTraitsEiEENS_6detail16IndexBoundsCheckILm5EiEESC_Lm5ESD_iEENS6_INS7_ISA_SB_Lm4ESD_iEESH_SB_Lm5ESD_iEESI_iiiiiiiii.num_agpr, 0
	.set _ZN2at6native12_GLOBAL__N_143conv_depthwise3d_cuda_backward_input_kernelIddLin1ELin1ELin1ELin1ELin1ELin1ELin1ELin1ELin1EEEvN5torch10headeronly6detail27GenericPackedTensorAccessorINS5_14TensorAccessorIN3c108ArrayRefIlEEKT_Lm4ENS4_16DefaultPtrTraitsEiEENS_6detail16IndexBoundsCheckILm5EiEESC_Lm5ESD_iEENS6_INS7_ISA_SB_Lm4ESD_iEESH_SB_Lm5ESD_iEESI_iiiiiiiii.numbered_sgpr, 83
	.set _ZN2at6native12_GLOBAL__N_143conv_depthwise3d_cuda_backward_input_kernelIddLin1ELin1ELin1ELin1ELin1ELin1ELin1ELin1ELin1EEEvN5torch10headeronly6detail27GenericPackedTensorAccessorINS5_14TensorAccessorIN3c108ArrayRefIlEEKT_Lm4ENS4_16DefaultPtrTraitsEiEENS_6detail16IndexBoundsCheckILm5EiEESC_Lm5ESD_iEENS6_INS7_ISA_SB_Lm4ESD_iEESH_SB_Lm5ESD_iEESI_iiiiiiiii.num_named_barrier, 0
	.set _ZN2at6native12_GLOBAL__N_143conv_depthwise3d_cuda_backward_input_kernelIddLin1ELin1ELin1ELin1ELin1ELin1ELin1ELin1ELin1EEEvN5torch10headeronly6detail27GenericPackedTensorAccessorINS5_14TensorAccessorIN3c108ArrayRefIlEEKT_Lm4ENS4_16DefaultPtrTraitsEiEENS_6detail16IndexBoundsCheckILm5EiEESC_Lm5ESD_iEENS6_INS7_ISA_SB_Lm4ESD_iEESH_SB_Lm5ESD_iEESI_iiiiiiiii.private_seg_size, 0
	.set _ZN2at6native12_GLOBAL__N_143conv_depthwise3d_cuda_backward_input_kernelIddLin1ELin1ELin1ELin1ELin1ELin1ELin1ELin1ELin1EEEvN5torch10headeronly6detail27GenericPackedTensorAccessorINS5_14TensorAccessorIN3c108ArrayRefIlEEKT_Lm4ENS4_16DefaultPtrTraitsEiEENS_6detail16IndexBoundsCheckILm5EiEESC_Lm5ESD_iEENS6_INS7_ISA_SB_Lm4ESD_iEESH_SB_Lm5ESD_iEESI_iiiiiiiii.uses_vcc, 1
	.set _ZN2at6native12_GLOBAL__N_143conv_depthwise3d_cuda_backward_input_kernelIddLin1ELin1ELin1ELin1ELin1ELin1ELin1ELin1ELin1EEEvN5torch10headeronly6detail27GenericPackedTensorAccessorINS5_14TensorAccessorIN3c108ArrayRefIlEEKT_Lm4ENS4_16DefaultPtrTraitsEiEENS_6detail16IndexBoundsCheckILm5EiEESC_Lm5ESD_iEENS6_INS7_ISA_SB_Lm4ESD_iEESH_SB_Lm5ESD_iEESI_iiiiiiiii.uses_flat_scratch, 0
	.set _ZN2at6native12_GLOBAL__N_143conv_depthwise3d_cuda_backward_input_kernelIddLin1ELin1ELin1ELin1ELin1ELin1ELin1ELin1ELin1EEEvN5torch10headeronly6detail27GenericPackedTensorAccessorINS5_14TensorAccessorIN3c108ArrayRefIlEEKT_Lm4ENS4_16DefaultPtrTraitsEiEENS_6detail16IndexBoundsCheckILm5EiEESC_Lm5ESD_iEENS6_INS7_ISA_SB_Lm4ESD_iEESH_SB_Lm5ESD_iEESI_iiiiiiiii.has_dyn_sized_stack, 0
	.set _ZN2at6native12_GLOBAL__N_143conv_depthwise3d_cuda_backward_input_kernelIddLin1ELin1ELin1ELin1ELin1ELin1ELin1ELin1ELin1EEEvN5torch10headeronly6detail27GenericPackedTensorAccessorINS5_14TensorAccessorIN3c108ArrayRefIlEEKT_Lm4ENS4_16DefaultPtrTraitsEiEENS_6detail16IndexBoundsCheckILm5EiEESC_Lm5ESD_iEENS6_INS7_ISA_SB_Lm4ESD_iEESH_SB_Lm5ESD_iEESI_iiiiiiiii.has_recursion, 0
	.set _ZN2at6native12_GLOBAL__N_143conv_depthwise3d_cuda_backward_input_kernelIddLin1ELin1ELin1ELin1ELin1ELin1ELin1ELin1ELin1EEEvN5torch10headeronly6detail27GenericPackedTensorAccessorINS5_14TensorAccessorIN3c108ArrayRefIlEEKT_Lm4ENS4_16DefaultPtrTraitsEiEENS_6detail16IndexBoundsCheckILm5EiEESC_Lm5ESD_iEENS6_INS7_ISA_SB_Lm4ESD_iEESH_SB_Lm5ESD_iEESI_iiiiiiiii.has_indirect_call, 0
	.section	.AMDGPU.csdata,"",@progbits
; Kernel info:
; codeLenInByte = 2292
; TotalNumSgprs: 85
; NumVgprs: 30
; ScratchSize: 0
; MemoryBound: 0
; FloatMode: 240
; IeeeMode: 1
; LDSByteSize: 0 bytes/workgroup (compile time only)
; SGPRBlocks: 0
; VGPRBlocks: 1
; NumSGPRsForWavesPerEU: 85
; NumVGPRsForWavesPerEU: 30
; NamedBarCnt: 0
; Occupancy: 16
; WaveLimiterHint : 0
; COMPUTE_PGM_RSRC2:SCRATCH_EN: 0
; COMPUTE_PGM_RSRC2:USER_SGPR: 2
; COMPUTE_PGM_RSRC2:TRAP_HANDLER: 0
; COMPUTE_PGM_RSRC2:TGID_X_EN: 1
; COMPUTE_PGM_RSRC2:TGID_Y_EN: 0
; COMPUTE_PGM_RSRC2:TGID_Z_EN: 0
; COMPUTE_PGM_RSRC2:TIDIG_COMP_CNT: 0
	.section	.text._ZN2at6native12_GLOBAL__N_143conv_depthwise3d_cuda_backward_input_kernelIffLi3ELi3ELi3ELi1ELi1ELi1ELi1ELi1ELi1EEEvN5torch10headeronly6detail27GenericPackedTensorAccessorINS5_14TensorAccessorIN3c108ArrayRefIlEEKT_Lm4ENS4_16DefaultPtrTraitsEiEENS_6detail16IndexBoundsCheckILm5EiEESC_Lm5ESD_iEENS6_INS7_ISA_SB_Lm4ESD_iEESH_SB_Lm5ESD_iEESI_iiiiiiiii,"axG",@progbits,_ZN2at6native12_GLOBAL__N_143conv_depthwise3d_cuda_backward_input_kernelIffLi3ELi3ELi3ELi1ELi1ELi1ELi1ELi1ELi1EEEvN5torch10headeronly6detail27GenericPackedTensorAccessorINS5_14TensorAccessorIN3c108ArrayRefIlEEKT_Lm4ENS4_16DefaultPtrTraitsEiEENS_6detail16IndexBoundsCheckILm5EiEESC_Lm5ESD_iEENS6_INS7_ISA_SB_Lm4ESD_iEESH_SB_Lm5ESD_iEESI_iiiiiiiii,comdat
	.globl	_ZN2at6native12_GLOBAL__N_143conv_depthwise3d_cuda_backward_input_kernelIffLi3ELi3ELi3ELi1ELi1ELi1ELi1ELi1ELi1EEEvN5torch10headeronly6detail27GenericPackedTensorAccessorINS5_14TensorAccessorIN3c108ArrayRefIlEEKT_Lm4ENS4_16DefaultPtrTraitsEiEENS_6detail16IndexBoundsCheckILm5EiEESC_Lm5ESD_iEENS6_INS7_ISA_SB_Lm4ESD_iEESH_SB_Lm5ESD_iEESI_iiiiiiiii ; -- Begin function _ZN2at6native12_GLOBAL__N_143conv_depthwise3d_cuda_backward_input_kernelIffLi3ELi3ELi3ELi1ELi1ELi1ELi1ELi1ELi1EEEvN5torch10headeronly6detail27GenericPackedTensorAccessorINS5_14TensorAccessorIN3c108ArrayRefIlEEKT_Lm4ENS4_16DefaultPtrTraitsEiEENS_6detail16IndexBoundsCheckILm5EiEESC_Lm5ESD_iEENS6_INS7_ISA_SB_Lm4ESD_iEESH_SB_Lm5ESD_iEESI_iiiiiiiii
	.p2align	8
	.type	_ZN2at6native12_GLOBAL__N_143conv_depthwise3d_cuda_backward_input_kernelIffLi3ELi3ELi3ELi1ELi1ELi1ELi1ELi1ELi1EEEvN5torch10headeronly6detail27GenericPackedTensorAccessorINS5_14TensorAccessorIN3c108ArrayRefIlEEKT_Lm4ENS4_16DefaultPtrTraitsEiEENS_6detail16IndexBoundsCheckILm5EiEESC_Lm5ESD_iEENS6_INS7_ISA_SB_Lm4ESD_iEESH_SB_Lm5ESD_iEESI_iiiiiiiii,@function
_ZN2at6native12_GLOBAL__N_143conv_depthwise3d_cuda_backward_input_kernelIffLi3ELi3ELi3ELi1ELi1ELi1ELi1ELi1ELi1EEEvN5torch10headeronly6detail27GenericPackedTensorAccessorINS5_14TensorAccessorIN3c108ArrayRefIlEEKT_Lm4ENS4_16DefaultPtrTraitsEiEENS_6detail16IndexBoundsCheckILm5EiEESC_Lm5ESD_iEENS6_INS7_ISA_SB_Lm4ESD_iEESH_SB_Lm5ESD_iEESI_iiiiiiiii: ; @_ZN2at6native12_GLOBAL__N_143conv_depthwise3d_cuda_backward_input_kernelIffLi3ELi3ELi3ELi1ELi1ELi1ELi1ELi1ELi1EEEvN5torch10headeronly6detail27GenericPackedTensorAccessorINS5_14TensorAccessorIN3c108ArrayRefIlEEKT_Lm4ENS4_16DefaultPtrTraitsEiEENS_6detail16IndexBoundsCheckILm5EiEESC_Lm5ESD_iEENS6_INS7_ISA_SB_Lm4ESD_iEESH_SB_Lm5ESD_iEESI_iiiiiiiii
; %bb.0:
	s_clause 0x1
	s_load_b128 s[4:7], s[0:1], 0x38
	s_load_b32 s2, s[0:1], 0xc4
	s_bfe_u32 s3, ttmp6, 0x4000c
	s_load_b64 s[20:21], s[0:1], 0x48
	s_add_co_i32 s3, s3, 1
	s_and_b32 s8, ttmp6, 15
	s_mul_i32 s3, ttmp9, s3
	s_getreg_b32 s9, hwreg(HW_REG_IB_STS2, 6, 4)
	v_mov_b32_e32 v1, 0
	s_add_co_i32 s8, s8, s3
	s_mov_b32 s25, 0
	s_wait_kmcnt 0x0
	s_abs_i32 s19, s5
	s_and_b32 s2, s2, 0xffff
	s_cmp_eq_u32 s9, 0
	s_mul_i32 s22, s21, s4
	s_cselect_b32 s3, ttmp9, s8
	s_ashr_i32 s23, s22, 31
	v_mad_nc_u64_u32 v[2:3], s2, s3, v[0:1]
	s_cvt_f32_u32 s3, s19
	s_mov_b32 s4, exec_lo
	s_delay_alu instid0(SALU_CYCLE_2) | instskip(SKIP_1) | instid1(TRANS32_DEP_1)
	v_rcp_iflag_f32_e32 v0, s3
	v_nop
	v_readfirstlane_b32 s3, v0
	s_delay_alu instid0(VALU_DEP_3)
	v_cmpx_gt_i64_e64 s[22:23], v[2:3]
	s_cbranch_execz .LBB17_62
; %bb.1:
	s_clause 0x1
	s_load_b128 s[8:11], s[0:1], 0xc
	s_load_b64 s[26:27], s[0:1], 0x0
	s_mul_f32 s3, s3, 0x4f7ffffe
	s_sub_co_i32 s4, 0, s19
	s_mov_b32 s13, s25
	s_ashr_i32 s33, s5, 31
	s_cvt_u32_f32 s3, s3
	s_add_nc_u64 s[36:37], s[0:1], 0xb8
	s_clause 0x3
	s_load_b96 s[16:18], s[0:1], 0x9c
	s_load_b32 s44, s[0:1], 0x7c
	s_load_b64 s[28:29], s[0:1], 0x1c
	s_load_b64 s[30:31], s[0:1], 0x30
	s_mul_i32 s12, s4, s3
	s_mov_b32 s41, s25
	s_mul_hi_u32 s12, s3, s12
	s_mov_b32 s43, s25
	s_add_co_i32 s12, s3, s12
	s_mov_b32 s53, s25
	s_wait_kmcnt 0x0
	s_abs_i32 s24, s8
	s_ashr_i32 s3, s8, 31
	s_mul_u64 s[38:39], s[24:25], s[12:13]
	s_xor_b32 s3, s3, s33
	s_mul_i32 s8, s39, s19
	s_clause 0x1
	s_load_b64 s[34:35], s[0:1], 0x60
	s_load_b128 s[12:15], s[0:1], 0x50
	s_sub_co_i32 s8, s24, s8
	s_add_co_i32 s24, s39, 1
	s_sub_co_i32 s38, s8, s19
	s_cmp_ge_u32 s8, s19
	s_wait_xcnt 0x0
	s_cselect_b32 s0, s24, s39
	s_cselect_b32 s1, s38, s8
	s_add_co_i32 s8, s0, 1
	s_cmp_ge_u32 s1, s19
	s_load_b32 s1, s[36:37], 0x0
	s_cselect_b32 s0, s8, s0
	v_readfirstlane_b32 s24, v0
	s_xor_b32 s0, s0, s3
	s_wait_xcnt 0x0
	s_mov_b32 s37, s25
	s_sub_co_i32 s8, s0, s3
	s_mov_b32 s39, s25
	s_cmp_gt_i32 s8, 0
	s_mul_f32 s0, s24, 0x4f7ffffe
	s_cselect_b32 s45, -1, 0
	s_abs_i32 s46, s20
	s_abs_i32 s47, s7
	;; [unrolled: 1-line block ×3, first 2 shown]
	s_cvt_f32_u32 s3, s46
	s_cvt_f32_u32 s24, s47
	;; [unrolled: 1-line block ×3, first 2 shown]
	s_cvt_u32_f32 s0, s0
	v_rcp_iflag_f32_e32 v0, s3
	v_rcp_iflag_f32_e32 v4, s24
	;; [unrolled: 1-line block ×3, first 2 shown]
	s_wait_kmcnt 0x0
	s_mul_i32 s24, s1, s2
	s_sub_co_i32 s36, 0, s46
	s_sub_co_i32 s38, 0, s47
	s_sub_co_i32 s40, 0, s48
	v_readfirstlane_b32 s1, v0
	v_readfirstlane_b32 s2, v4
	v_readfirstlane_b32 s3, v5
	s_mul_i32 s4, s4, s0
	s_ashr_i32 s49, s20, 31
	s_mul_f32 s1, s1, 0x4f7ffffe
	s_mul_f32 s2, s2, 0x4f7ffffe
	;; [unrolled: 1-line block ×3, first 2 shown]
	s_ashr_i32 s50, s7, 31
	s_cvt_u32_f32 s1, s1
	s_cvt_u32_f32 s2, s2
	;; [unrolled: 1-line block ×3, first 2 shown]
	s_ashr_i32 s51, s6, 31
	s_mul_i32 s36, s36, s1
	s_mul_i32 s38, s38, s2
	;; [unrolled: 1-line block ×3, first 2 shown]
	s_mul_hi_u32 s36, s1, s36
	s_mul_hi_u32 s38, s2, s38
	;; [unrolled: 1-line block ×3, first 2 shown]
	s_add_co_i32 s36, s1, s36
	s_mul_hi_u32 s1, s0, s4
	s_add_co_i32 s38, s2, s38
	s_add_co_i32 s40, s3, s40
	;; [unrolled: 1-line block ×3, first 2 shown]
	s_mul_i32 s52, s29, s8
	s_branch .LBB17_4
.LBB17_2:                               ;   in Loop: Header=BB17_4 Depth=1
	s_or_b32 exec_lo, exec_lo, s0
.LBB17_3:                               ;   in Loop: Header=BB17_4 Depth=1
	v_mul_lo_u32 v4, v68, s21
	v_mul_lo_u32 v6, s12, v69
	;; [unrolled: 1-line block ×5, first 2 shown]
	v_add_nc_u64_e32 v[2:3], s[24:25], v[2:3]
	v_dual_ashrrev_i32 v5, 31, v4 :: v_dual_ashrrev_i32 v7, 31, v6
	s_delay_alu instid0(VALU_DEP_4) | instskip(NEXT) | instid1(VALU_DEP_4)
	v_dual_ashrrev_i32 v9, 31, v8 :: v_dual_ashrrev_i32 v11, 31, v10
	v_ashrrev_i32_e32 v13, 31, v12
	s_delay_alu instid0(VALU_DEP_3) | instskip(SKIP_1) | instid1(VALU_DEP_2)
	v_lshl_add_u64 v[4:5], v[4:5], 2, s[30:31]
	v_cmp_le_i64_e32 vcc_lo, s[22:23], v[2:3]
	v_lshl_add_u64 v[4:5], v[6:7], 2, v[4:5]
	s_or_b32 s53, vcc_lo, s53
	s_delay_alu instid0(VALU_DEP_1) | instskip(NEXT) | instid1(VALU_DEP_1)
	v_lshl_add_u64 v[4:5], v[8:9], 2, v[4:5]
	v_lshl_add_u64 v[4:5], v[10:11], 2, v[4:5]
	s_delay_alu instid0(VALU_DEP_1)
	v_lshl_add_u64 v[4:5], v[12:13], 2, v[4:5]
	global_store_b32 v[4:5], v71, off
	s_wait_xcnt 0x0
	s_and_not1_b32 exec_lo, exec_lo, s53
	s_cbranch_execz .LBB17_62
.LBB17_4:                               ; =>This Loop Header: Depth=1
                                        ;     Child Loop BB17_7 Depth 2
	v_sub_nc_u32_e32 v0, 0, v2
	s_delay_alu instid0(VALU_DEP_1) | instskip(NEXT) | instid1(VALU_DEP_1)
	v_max_i32_e32 v0, v2, v0
	v_mul_u64_e32 v[4:5], s[36:37], v[0:1]
	s_delay_alu instid0(VALU_DEP_1) | instskip(NEXT) | instid1(VALU_DEP_1)
	v_mul_lo_u32 v4, v5, s46
	v_dual_sub_nc_u32 v0, v0, v4 :: v_dual_add_nc_u32 v4, 1, v5
	s_delay_alu instid0(VALU_DEP_1) | instskip(NEXT) | instid1(VALU_DEP_2)
	v_cmp_le_u32_e32 vcc_lo, s46, v0
	v_cndmask_b32_e32 v4, v5, v4, vcc_lo
	v_subrev_nc_u32_e32 v6, s46, v0
	v_ashrrev_i32_e32 v5, 31, v2
	s_delay_alu instid0(VALU_DEP_2) | instskip(NEXT) | instid1(VALU_DEP_1)
	v_dual_cndmask_b32 v0, v0, v6, vcc_lo :: v_dual_add_nc_u32 v6, 1, v4
	v_cmp_le_u32_e32 vcc_lo, s46, v0
	s_delay_alu instid0(VALU_DEP_2) | instskip(NEXT) | instid1(VALU_DEP_1)
	v_dual_cndmask_b32 v0, v4, v6, vcc_lo :: v_dual_bitop2_b32 v5, s49, v5 bitop3:0x14
	v_xor_b32_e32 v0, v0, v5
	s_delay_alu instid0(VALU_DEP_1) | instskip(NEXT) | instid1(VALU_DEP_1)
	v_sub_nc_u32_e32 v6, v0, v5
	v_sub_nc_u32_e32 v0, 0, v6
	s_delay_alu instid0(VALU_DEP_1) | instskip(NEXT) | instid1(VALU_DEP_1)
	v_max_i32_e32 v0, v6, v0
	v_mul_u64_e32 v[4:5], s[38:39], v[0:1]
	s_delay_alu instid0(VALU_DEP_1) | instskip(NEXT) | instid1(VALU_DEP_1)
	v_mul_lo_u32 v4, v5, s47
	v_dual_sub_nc_u32 v0, v0, v4 :: v_dual_add_nc_u32 v4, 1, v5
	s_delay_alu instid0(VALU_DEP_1) | instskip(SKIP_1) | instid1(VALU_DEP_2)
	v_subrev_nc_u32_e32 v7, s47, v0
	v_cmp_le_u32_e32 vcc_lo, s47, v0
	v_dual_cndmask_b32 v4, v5, v4, vcc_lo :: v_dual_cndmask_b32 v0, v0, v7, vcc_lo
	s_delay_alu instid0(VALU_DEP_1) | instskip(NEXT) | instid1(VALU_DEP_2)
	v_dual_ashrrev_i32 v5, 31, v6 :: v_dual_add_nc_u32 v7, 1, v4
	v_cmp_le_u32_e32 vcc_lo, s47, v0
	s_delay_alu instid0(VALU_DEP_2) | instskip(NEXT) | instid1(VALU_DEP_1)
	v_dual_cndmask_b32 v0, v4, v7, vcc_lo :: v_dual_bitop2_b32 v5, s50, v5 bitop3:0x14
	v_xor_b32_e32 v0, v0, v5
	s_delay_alu instid0(VALU_DEP_1) | instskip(NEXT) | instid1(VALU_DEP_1)
	v_sub_nc_u32_e32 v7, v0, v5
	v_sub_nc_u32_e32 v0, 0, v7
	s_delay_alu instid0(VALU_DEP_1) | instskip(NEXT) | instid1(VALU_DEP_1)
	v_max_i32_e32 v0, v7, v0
	v_mul_u64_e32 v[4:5], s[40:41], v[0:1]
	s_delay_alu instid0(VALU_DEP_1) | instskip(NEXT) | instid1(VALU_DEP_1)
	v_mul_lo_u32 v4, v5, s48
	v_dual_sub_nc_u32 v0, v0, v4 :: v_dual_add_nc_u32 v4, 1, v5
	s_delay_alu instid0(VALU_DEP_1) | instskip(SKIP_1) | instid1(VALU_DEP_3)
	v_subrev_nc_u32_e32 v8, s48, v0
	v_cmp_le_u32_e32 vcc_lo, s48, v0
	v_dual_cndmask_b32 v4, v5, v4 :: v_dual_ashrrev_i32 v5, 31, v7
	s_delay_alu instid0(VALU_DEP_1) | instskip(NEXT) | instid1(VALU_DEP_2)
	v_dual_cndmask_b32 v0, v0, v8, vcc_lo :: v_dual_bitop2_b32 v5, s51, v5 bitop3:0x14
	v_add_nc_u32_e32 v8, 1, v4
	s_delay_alu instid0(VALU_DEP_2) | instskip(NEXT) | instid1(VALU_DEP_2)
	v_cmp_le_u32_e32 vcc_lo, s48, v0
	v_cndmask_b32_e32 v0, v4, v8, vcc_lo
	s_delay_alu instid0(VALU_DEP_1) | instskip(NEXT) | instid1(VALU_DEP_1)
	v_xor_b32_e32 v0, v0, v5
	v_sub_nc_u32_e32 v8, v0, v5
	s_delay_alu instid0(VALU_DEP_1) | instskip(NEXT) | instid1(VALU_DEP_1)
	v_sub_nc_u32_e32 v0, 0, v8
	v_max_i32_e32 v0, v8, v0
	s_delay_alu instid0(VALU_DEP_1) | instskip(NEXT) | instid1(VALU_DEP_1)
	v_mul_u64_e32 v[4:5], s[42:43], v[0:1]
	v_mul_lo_u32 v4, v5, s19
	s_delay_alu instid0(VALU_DEP_1) | instskip(NEXT) | instid1(VALU_DEP_1)
	v_dual_sub_nc_u32 v0, v0, v4 :: v_dual_add_nc_u32 v4, 1, v5
	v_subrev_nc_u32_e32 v9, s19, v0
	v_cmp_le_u32_e32 vcc_lo, s19, v0
	s_delay_alu instid0(VALU_DEP_2) | instskip(SKIP_1) | instid1(VALU_DEP_2)
	v_dual_cndmask_b32 v4, v5, v4, vcc_lo :: v_dual_cndmask_b32 v0, v0, v9, vcc_lo
	v_ashrrev_i32_e32 v5, 31, v8
	v_add_nc_u32_e32 v9, 1, v4
	s_delay_alu instid0(VALU_DEP_3) | instskip(NEXT) | instid1(VALU_DEP_3)
	v_cmp_le_u32_e32 vcc_lo, s19, v0
	v_xor_b32_e32 v5, s33, v5
	s_delay_alu instid0(VALU_DEP_3) | instskip(SKIP_2) | instid1(VALU_DEP_1)
	v_cndmask_b32_e32 v0, v4, v9, vcc_lo
	v_mul_lo_u32 v4, v7, s7
	s_and_not1_b32 vcc_lo, exec_lo, s45
	v_dual_sub_nc_u32 v66, v6, v4 :: v_dual_bitop2_b32 v0, v0, v5 bitop3:0x14
	s_delay_alu instid0(VALU_DEP_1) | instskip(SKIP_2) | instid1(VALU_DEP_2)
	v_sub_nc_u32_e32 v68, v0, v5
	v_mul_lo_u32 v0, v6, s20
	v_mul_lo_u32 v5, v8, s6
	v_sub_nc_u32_e32 v0, v2, v0
	s_delay_alu instid0(VALU_DEP_4) | instskip(NEXT) | instid1(VALU_DEP_3)
	v_mul_lo_u32 v9, v68, s5
	v_sub_nc_u32_e32 v67, v7, v5
	s_delay_alu instid0(VALU_DEP_2)
	v_sub_nc_u32_e32 v69, v8, v9
	s_cbranch_vccnz .LBB17_61
; %bb.5:                                ;   in Loop: Header=BB17_4 Depth=1
	s_delay_alu instid0(VALU_DEP_2) | instskip(SKIP_1) | instid1(VALU_DEP_3)
	v_dual_add_nc_u32 v23, s16, v67 :: v_dual_add_nc_u32 v40, s17, v66
	v_add_nc_u32_e32 v55, s18, v0
	v_mul_lo_u32 v70, v69, s8
	v_mul_lo_u32 v6, s28, v68
	s_delay_alu instid0(VALU_DEP_4) | instskip(SKIP_3) | instid1(VALU_DEP_3)
	v_mul_lo_u32 v22, v23, s10
	v_dual_add_nc_u32 v48, -2, v40 :: v_dual_add_nc_u32 v44, -1, v40
	v_add_nc_u32_e32 v41, -2, v23
	v_dual_add_nc_u32 v58, -1, v55 :: v_dual_bitop2_b32 v4, v55, v40 bitop3:0x54
	v_dual_add_nc_u32 v25, -1, v23 :: v_dual_bitop2_b32 v21, v55, v48 bitop3:0x54
	s_delay_alu instid0(VALU_DEP_2) | instskip(SKIP_4) | instid1(VALU_DEP_3)
	v_dual_add_nc_u32 v59, -2, v55 :: v_dual_bitop2_b32 v26, v58, v48 bitop3:0x54
	v_dual_add_nc_u32 v16, v44, v22 :: v_dual_bitop2_b32 v11, v58, v40 bitop3:0x54
	v_dual_add_nc_u32 v5, v40, v22 :: v_dual_bitop2_b32 v15, v55, v44 bitop3:0x54
	v_dual_ashrrev_i32 v7, 31, v6 :: v_dual_bitop2_b32 v42, v4, v41 bitop3:0x54
	v_mul_lo_u32 v8, s44, v70
	v_mul_lo_u32 v12, v5, s11
	v_or_b32_e32 v24, v4, v25
	v_or_b32_e32 v4, v4, v23
	v_mul_lo_u32 v19, v16, s11
	v_or_b32_e32 v13, v59, v40
	v_cmp_gt_i32_e64 s0, s10, v40
	v_cmp_gt_i32_e64 s1, s11, v55
	v_cmp_lt_i32_e64 s3, -1, v4
	v_cmp_gt_i32_e32 vcc_lo, s9, v23
	v_cmp_gt_i32_e64 s2, s11, v58
	v_dual_add_nc_u32 v4, v55, v12 :: v_dual_bitop2_b32 v14, v13, v23 bitop3:0x54
	v_or_b32_e32 v10, v11, v23
	s_and_b32 s72, s1, s0
	s_and_b32 s73, s2, s0
	;; [unrolled: 1-line block ×3, first 2 shown]
	v_ashrrev_i32_e32 v5, 31, v4
	s_and_b32 s54, s3, vcc_lo
	v_cmp_lt_i32_e64 s3, -1, v10
	v_dual_add_nc_u32 v31, v48, v22 :: v_dual_bitop2_b32 v28, v59, v48 bitop3:0x54
	v_cmp_lt_i32_e64 s4, -1, v14
	v_or_b32_e32 v14, v15, v23
	s_and_b32 s3, s73, s3
	v_add_nc_u32_e32 v10, v58, v12
	s_and_b32 s55, s3, vcc_lo
	v_cmp_gt_i32_e64 s3, s11, v59
	v_or_b32_e32 v17, v58, v44
	v_mul_lo_u32 v31, v31, s11
	v_add_nc_u32_e32 v12, v59, v12
	v_or_b32_e32 v43, v11, v41
	s_and_b32 s74, s3, s0
	v_cmp_gt_i32_e64 s0, s10, v44
	s_and_b32 s4, s74, s4
	v_or_b32_e32 v18, v59, v44
	s_and_b32 s56, s4, vcc_lo
	v_cmp_lt_i32_e64 s4, -1, v14
	v_add_nc_u32_e32 v14, v55, v19
	v_dual_ashrrev_i32 v11, 31, v10 :: v_dual_bitop2_b32 v27, v11, v25 bitop3:0x54
	v_or_b32_e32 v16, v17, v23
	s_and_b32 s75, s1, s0
	v_subrev_nc_u32_e32 v37, s10, v22
	s_and_b32 s4, s75, s4
	v_add_nc_u32_e32 v22, v58, v31
	s_and_b32 s57, s4, vcc_lo
	v_cmp_lt_i32_e64 s4, -1, v16
	v_dual_add_nc_u32 v35, v40, v37 :: v_dual_bitop2_b32 v20, v18, v23 bitop3:0x54
	s_and_b32 s76, s2, s0
	s_and_b32 s78, s3, s0
	v_cmp_gt_i32_e64 s0, s10, v48
	s_and_b32 s4, s76, s4
	v_ashrrev_i32_e32 v9, 31, v8
	s_and_b32 s58, s4, vcc_lo
	v_cmp_lt_i32_e64 s4, -1, v20
	v_or_b32_e32 v49, v18, v41
	s_and_b32 s79, s1, s0
	s_and_b32 s77, s2, s0
	;; [unrolled: 1-line block ×3, first 2 shown]
	v_cmp_lt_i32_e64 s0, -1, v24
	v_add_nc_u32_e32 v24, v59, v31
	v_or_b32_e32 v20, v21, v23
	s_and_b32 s4, s78, s4
	v_or_b32_e32 v34, v26, v23
	s_and_b32 s59, s4, vcc_lo
	v_or_b32_e32 v32, v17, v25
	v_cmp_lt_i32_e64 s4, -1, v20
	v_dual_add_nc_u32 v20, v55, v31 :: v_dual_add_nc_u32 v31, v44, v37
	v_or_b32_e32 v46, v15, v41
	v_or_b32_e32 v30, v15, v25
	s_and_b32 s1, s79, s4
	v_or_b32_e32 v47, v17, v41
	s_and_b32 s60, s1, vcc_lo
	v_cmp_lt_i32_e64 s1, -1, v34
	v_dual_ashrrev_i32 v15, 31, v14 :: v_dual_bitop2_b32 v34, v28, v23 bitop3:0x54
	v_dual_add_nc_u32 v16, v58, v19 :: v_dual_bitop2_b32 v29, v13, v25 bitop3:0x54
	s_and_b32 s1, s77, s1
	s_and_b32 s0, s72, s0
	s_and_b32 s61, s1, vcc_lo
	v_cmp_lt_i32_e64 s1, -1, v34
	v_mul_lo_u32 v52, v31, s11
	v_mul_lo_u32 v34, v35, s11
	v_dual_add_nc_u32 v18, v59, v19 :: v_dual_bitop2_b32 v33, v18, v25 bitop3:0x54
	s_and_b32 s1, s80, s1
	v_ashrrev_i32_e32 v23, 31, v22
	s_and_b32 s62, s1, vcc_lo
	v_cmp_gt_i32_e32 vcc_lo, s9, v25
	v_cmp_lt_i32_e64 s1, -1, v27
	v_or_b32_e32 v53, v28, v41
	v_or_b32_e32 v51, v26, v41
	;; [unrolled: 1-line block ×3, first 2 shown]
	s_and_b32 s63, s0, vcc_lo
	s_and_b32 s0, s73, s1
	v_cmp_lt_i32_e64 s1, -1, v30
	s_and_b32 s64, s0, vcc_lo
	v_cmp_lt_i32_e64 s0, -1, v29
	v_dual_add_nc_u32 v30, v59, v34 :: v_dual_bitop2_b32 v38, v26, v25 bitop3:0x54
	v_dual_add_nc_u32 v26, v55, v34 :: v_dual_bitop2_b32 v39, v28, v25 bitop3:0x54
	s_and_b32 s0, s74, s0
	v_add_nc_u32_e32 v28, v58, v34
	s_and_b32 s65, s0, vcc_lo
	s_and_b32 s0, s75, s1
	v_cmp_lt_i32_e64 s1, -1, v33
	s_and_b32 s66, s0, vcc_lo
	v_cmp_lt_i32_e64 s0, -1, v32
	v_dual_add_nc_u32 v32, v55, v52 :: v_dual_add_nc_u32 v35, v48, v37
	v_dual_add_nc_u32 v34, v58, v52 :: v_dual_ashrrev_i32 v31, 31, v30
	s_and_b32 s0, s76, s0
	s_delay_alu instid0(VALU_DEP_2) | instskip(NEXT) | instid1(VALU_DEP_3)
	v_ashrrev_i32_e32 v33, 31, v32
	v_mul_lo_u32 v54, v35, s11
	s_and_b32 s67, s0, vcc_lo
	s_and_b32 s0, s78, s1
	v_ashrrev_i32_e32 v35, 31, v34
	s_and_b32 s68, s0, vcc_lo
	v_cmp_lt_i32_e64 s0, -1, v36
	v_add_nc_u32_e32 v36, v59, v52
	v_cmp_lt_i32_e64 s1, -1, v38
	v_subrev_nc_u32_e32 v52, s10, v37
	v_cmp_lt_i32_e64 s2, -1, v39
	s_and_b32 s0, s79, s0
	v_dual_add_nc_u32 v38, v55, v54 :: v_dual_ashrrev_i32 v37, 31, v36
	v_add_nc_u32_e32 v56, v40, v52
	s_and_b32 s69, s0, vcc_lo
	s_and_b32 s0, s77, s1
	s_delay_alu instid0(VALU_DEP_2)
	v_ashrrev_i32_e32 v39, 31, v38
	v_cmp_lt_i32_e64 s1, -1, v42
	v_mul_lo_u32 v56, v56, s11
	v_dual_ashrrev_i32 v17, 31, v16 :: v_dual_bitop2_b32 v45, v13, v41 bitop3:0x54
	s_and_b32 s70, s0, vcc_lo
	v_cmp_gt_i32_e64 s0, s9, v41
	s_and_b32 s2, s80, s2
	s_and_b32 s1, s72, s1
	v_dual_ashrrev_i32 v27, 31, v26 :: v_dual_bitop2_b32 v50, v21, v41 bitop3:0x54
	v_ashrrev_i32_e32 v21, 31, v20
	s_and_b32 s71, s2, vcc_lo
	s_and_b32 s72, s1, s0
	v_cmp_lt_i32_e32 vcc_lo, -1, v45
	v_cmp_lt_i32_e64 s1, -1, v46
	v_cmp_lt_i32_e64 s4, -1, v49
	v_add_nc_u32_e32 v46, v58, v56
	v_add_nc_u32_e32 v49, v48, v52
	;; [unrolled: 1-line block ×3, first 2 shown]
	v_dual_add_nc_u32 v45, v44, v52 :: v_dual_add_nc_u32 v40, v58, v54
	v_add_nc_u32_e32 v42, v59, v54
	v_cmp_lt_i32_e64 s2, -1, v47
	v_ashrrev_i32_e32 v47, 31, v46
	s_delay_alu instid0(VALU_DEP_4)
	v_mul_lo_u32 v54, v45, s11
	v_ashrrev_i32_e32 v13, 31, v12
	v_cmp_lt_i32_e64 s3, -1, v43
	s_and_b32 s1, s75, s1
	v_mul_lo_u32 v62, s52, v69
	s_and_b32 s75, s1, s0
	s_and_b32 s1, s76, s2
	;; [unrolled: 1-line block ×3, first 2 shown]
	v_add_nc_u32_e32 v44, v55, v56
	s_and_b32 s73, s3, s0
	s_and_b32 s3, s74, vcc_lo
	v_add_nc_u32_e32 v52, v58, v54
	v_mul_lo_u32 v60, v49, s11
	v_cmp_lt_i32_e32 vcc_lo, -1, v50
	v_dual_add_nc_u32 v50, v55, v54 :: v_dual_ashrrev_i32 v49, 31, v48
	v_add_nc_u32_e32 v54, v59, v54
	s_and_b32 s74, s3, s0
	v_cmp_lt_i32_e64 s3, -1, v51
	s_and_b32 s2, s1, s0
	v_cmp_lt_i32_e64 s1, -1, v53
	v_lshl_add_u64 v[6:7], v[6:7], 2, s[26:27]
	v_lshl_add_u64 v[8:9], v[8:9], 2, s[34:35]
	v_dual_add_nc_u32 v56, v55, v60 :: v_dual_add_nc_u32 v58, v58, v60
	v_dual_add_nc_u32 v60, v59, v60 :: v_dual_add_nc_u32 v72, s8, v70
	v_dual_ashrrev_i32 v19, 31, v18 :: v_dual_ashrrev_i32 v25, 31, v24
	v_ashrrev_i32_e32 v29, 31, v28
	v_dual_ashrrev_i32 v41, 31, v40 :: v_dual_ashrrev_i32 v43, 31, v42
	v_dual_ashrrev_i32 v45, 31, v44 :: v_dual_ashrrev_i32 v51, 31, v50
	v_dual_ashrrev_i32 v53, 31, v52 :: v_dual_ashrrev_i32 v55, 31, v54
	v_dual_ashrrev_i32 v57, 31, v56 :: v_dual_ashrrev_i32 v59, 31, v58
	v_dual_ashrrev_i32 v61, 31, v60 :: v_dual_mov_b32 v71, 0
	s_and_b32 s4, s78, s4
	s_and_b32 s76, s79, vcc_lo
	s_and_b32 s3, s77, s3
	s_and_b32 s77, s80, s1
	;; [unrolled: 1-line block ×6, first 2 shown]
	s_mov_b32 s0, 0
	s_branch .LBB17_7
.LBB17_6:                               ;   in Loop: Header=BB17_7 Depth=2
	s_wait_xcnt 0x0
	s_or_b32 exec_lo, exec_lo, s77
	s_wait_loadcnt 0x1a
	v_dual_fmac_f32 v71, v73, v63 :: v_dual_add_nc_u32 v70, 1, v70
	v_add_nc_u64_e32 v[8:9], 0x6c, v[8:9]
	s_wait_loadcnt 0x19
	s_delay_alu instid0(VALU_DEP_2) | instskip(NEXT) | instid1(VALU_DEP_3)
	v_dual_fmac_f32 v71, v74, v76 :: v_dual_add_nc_u32 v62, s29, v62
	v_cmp_ge_i32_e32 vcc_lo, v70, v72
	s_wait_loadcnt 0x18
	s_delay_alu instid0(VALU_DEP_2) | instskip(SKIP_2) | instid1(VALU_DEP_1)
	v_fmac_f32_e32 v71, v77, v75
	s_or_b32 s0, vcc_lo, s0
	s_wait_loadcnt 0x17
	v_fmac_f32_e32 v71, v78, v80
	s_wait_loadcnt 0x16
	s_delay_alu instid0(VALU_DEP_1) | instskip(SKIP_1) | instid1(VALU_DEP_1)
	v_fmac_f32_e32 v71, v81, v79
	s_wait_loadcnt 0x15
	v_fmac_f32_e32 v71, v82, v84
	s_wait_loadcnt 0x14
	s_delay_alu instid0(VALU_DEP_1) | instskip(SKIP_1) | instid1(VALU_DEP_1)
	v_fmac_f32_e32 v71, v85, v83
	;; [unrolled: 5-line block ×11, first 2 shown]
	s_wait_loadcnt 0x1
	v_fmac_f32_e32 v71, v123, v124
	s_wait_loadcnt 0x0
	s_delay_alu instid0(VALU_DEP_1)
	v_fmac_f32_e32 v71, v125, v122
	s_and_not1_b32 exec_lo, exec_lo, s0
	s_cbranch_execz .LBB17_2
.LBB17_7:                               ;   Parent Loop BB17_4 Depth=1
                                        ; =>  This Inner Loop Header: Depth=2
	global_load_b32 v73, v[8:9], off
	v_ashrrev_i32_e32 v63, 31, v62
	s_delay_alu instid0(VALU_DEP_1)
	v_lshl_add_u64 v[64:65], v[62:63], 2, v[6:7]
	v_mov_b32_e32 v63, 0
	s_wait_xcnt 0x0
	s_and_saveexec_b32 s77, s54
	s_cbranch_execz .LBB17_9
; %bb.8:                                ;   in Loop: Header=BB17_7 Depth=2
	v_lshl_add_u64 v[74:75], v[4:5], 2, v[64:65]
	global_load_b32 v63, v[74:75], off
.LBB17_9:                               ;   in Loop: Header=BB17_7 Depth=2
	s_wait_xcnt 0x0
	s_or_b32 exec_lo, exec_lo, s77
	global_load_b32 v74, v[8:9], off offset:4
	v_dual_mov_b32 v75, 0 :: v_dual_mov_b32 v76, 0
	s_wait_xcnt 0x0
	s_and_saveexec_b32 s77, s55
	s_cbranch_execz .LBB17_11
; %bb.10:                               ;   in Loop: Header=BB17_7 Depth=2
	v_lshl_add_u64 v[76:77], v[10:11], 2, v[64:65]
	global_load_b32 v76, v[76:77], off
.LBB17_11:                              ;   in Loop: Header=BB17_7 Depth=2
	s_wait_xcnt 0x0
	s_or_b32 exec_lo, exec_lo, s77
	global_load_b32 v77, v[8:9], off offset:8
	s_wait_xcnt 0x0
	s_and_saveexec_b32 s77, s56
	s_cbranch_execz .LBB17_13
; %bb.12:                               ;   in Loop: Header=BB17_7 Depth=2
	v_lshl_add_u64 v[78:79], v[12:13], 2, v[64:65]
	global_load_b32 v75, v[78:79], off
.LBB17_13:                              ;   in Loop: Header=BB17_7 Depth=2
	s_wait_xcnt 0x0
	s_or_b32 exec_lo, exec_lo, s77
	global_load_b32 v78, v[8:9], off offset:12
	v_dual_mov_b32 v79, 0 :: v_dual_mov_b32 v80, 0
	s_wait_xcnt 0x0
	s_and_saveexec_b32 s77, s57
	s_cbranch_execz .LBB17_15
; %bb.14:                               ;   in Loop: Header=BB17_7 Depth=2
	v_lshl_add_u64 v[80:81], v[14:15], 2, v[64:65]
	global_load_b32 v80, v[80:81], off
.LBB17_15:                              ;   in Loop: Header=BB17_7 Depth=2
	s_wait_xcnt 0x0
	s_or_b32 exec_lo, exec_lo, s77
	global_load_b32 v81, v[8:9], off offset:16
	s_wait_xcnt 0x0
	s_and_saveexec_b32 s77, s58
	s_cbranch_execz .LBB17_17
; %bb.16:                               ;   in Loop: Header=BB17_7 Depth=2
	v_lshl_add_u64 v[82:83], v[16:17], 2, v[64:65]
	global_load_b32 v79, v[82:83], off
.LBB17_17:                              ;   in Loop: Header=BB17_7 Depth=2
	;; [unrolled: 21-line block ×12, first 2 shown]
	s_wait_xcnt 0x0
	s_or_b32 exec_lo, exec_lo, s77
	global_load_b32 v123, v[8:9], off offset:100
	v_dual_mov_b32 v122, 0 :: v_dual_mov_b32 v124, 0
	s_wait_xcnt 0x0
	s_and_saveexec_b32 s77, s1
	s_cbranch_execz .LBB17_59
; %bb.58:                               ;   in Loop: Header=BB17_7 Depth=2
	v_lshl_add_u64 v[124:125], v[58:59], 2, v[64:65]
	global_load_b32 v124, v[124:125], off
.LBB17_59:                              ;   in Loop: Header=BB17_7 Depth=2
	s_wait_xcnt 0x0
	s_or_b32 exec_lo, exec_lo, s77
	global_load_b32 v125, v[8:9], off offset:104
	s_wait_xcnt 0x0
	s_and_saveexec_b32 s77, s3
	s_cbranch_execz .LBB17_6
; %bb.60:                               ;   in Loop: Header=BB17_7 Depth=2
	v_lshl_add_u64 v[64:65], v[60:61], 2, v[64:65]
	global_load_b32 v122, v[64:65], off
	s_branch .LBB17_6
.LBB17_61:                              ;   in Loop: Header=BB17_4 Depth=1
	v_mov_b32_e32 v71, 0
	s_branch .LBB17_3
.LBB17_62:
	s_sendmsg sendmsg(MSG_DEALLOC_VGPRS)
	s_endpgm
	.section	.rodata,"a",@progbits
	.p2align	6, 0x0
	.amdhsa_kernel _ZN2at6native12_GLOBAL__N_143conv_depthwise3d_cuda_backward_input_kernelIffLi3ELi3ELi3ELi1ELi1ELi1ELi1ELi1ELi1EEEvN5torch10headeronly6detail27GenericPackedTensorAccessorINS5_14TensorAccessorIN3c108ArrayRefIlEEKT_Lm4ENS4_16DefaultPtrTraitsEiEENS_6detail16IndexBoundsCheckILm5EiEESC_Lm5ESD_iEENS6_INS7_ISA_SB_Lm4ESD_iEESH_SB_Lm5ESD_iEESI_iiiiiiiii
		.amdhsa_group_segment_fixed_size 0
		.amdhsa_private_segment_fixed_size 0
		.amdhsa_kernarg_size 440
		.amdhsa_user_sgpr_count 2
		.amdhsa_user_sgpr_dispatch_ptr 0
		.amdhsa_user_sgpr_queue_ptr 0
		.amdhsa_user_sgpr_kernarg_segment_ptr 1
		.amdhsa_user_sgpr_dispatch_id 0
		.amdhsa_user_sgpr_kernarg_preload_length 0
		.amdhsa_user_sgpr_kernarg_preload_offset 0
		.amdhsa_user_sgpr_private_segment_size 0
		.amdhsa_wavefront_size32 1
		.amdhsa_uses_dynamic_stack 0
		.amdhsa_enable_private_segment 0
		.amdhsa_system_sgpr_workgroup_id_x 1
		.amdhsa_system_sgpr_workgroup_id_y 0
		.amdhsa_system_sgpr_workgroup_id_z 0
		.amdhsa_system_sgpr_workgroup_info 0
		.amdhsa_system_vgpr_workitem_id 0
		.amdhsa_next_free_vgpr 126
		.amdhsa_next_free_sgpr 81
		.amdhsa_named_barrier_count 0
		.amdhsa_reserve_vcc 1
		.amdhsa_float_round_mode_32 0
		.amdhsa_float_round_mode_16_64 0
		.amdhsa_float_denorm_mode_32 3
		.amdhsa_float_denorm_mode_16_64 3
		.amdhsa_fp16_overflow 0
		.amdhsa_memory_ordered 1
		.amdhsa_forward_progress 1
		.amdhsa_inst_pref_size 35
		.amdhsa_round_robin_scheduling 0
		.amdhsa_exception_fp_ieee_invalid_op 0
		.amdhsa_exception_fp_denorm_src 0
		.amdhsa_exception_fp_ieee_div_zero 0
		.amdhsa_exception_fp_ieee_overflow 0
		.amdhsa_exception_fp_ieee_underflow 0
		.amdhsa_exception_fp_ieee_inexact 0
		.amdhsa_exception_int_div_zero 0
	.end_amdhsa_kernel
	.section	.text._ZN2at6native12_GLOBAL__N_143conv_depthwise3d_cuda_backward_input_kernelIffLi3ELi3ELi3ELi1ELi1ELi1ELi1ELi1ELi1EEEvN5torch10headeronly6detail27GenericPackedTensorAccessorINS5_14TensorAccessorIN3c108ArrayRefIlEEKT_Lm4ENS4_16DefaultPtrTraitsEiEENS_6detail16IndexBoundsCheckILm5EiEESC_Lm5ESD_iEENS6_INS7_ISA_SB_Lm4ESD_iEESH_SB_Lm5ESD_iEESI_iiiiiiiii,"axG",@progbits,_ZN2at6native12_GLOBAL__N_143conv_depthwise3d_cuda_backward_input_kernelIffLi3ELi3ELi3ELi1ELi1ELi1ELi1ELi1ELi1EEEvN5torch10headeronly6detail27GenericPackedTensorAccessorINS5_14TensorAccessorIN3c108ArrayRefIlEEKT_Lm4ENS4_16DefaultPtrTraitsEiEENS_6detail16IndexBoundsCheckILm5EiEESC_Lm5ESD_iEENS6_INS7_ISA_SB_Lm4ESD_iEESH_SB_Lm5ESD_iEESI_iiiiiiiii,comdat
.Lfunc_end17:
	.size	_ZN2at6native12_GLOBAL__N_143conv_depthwise3d_cuda_backward_input_kernelIffLi3ELi3ELi3ELi1ELi1ELi1ELi1ELi1ELi1EEEvN5torch10headeronly6detail27GenericPackedTensorAccessorINS5_14TensorAccessorIN3c108ArrayRefIlEEKT_Lm4ENS4_16DefaultPtrTraitsEiEENS_6detail16IndexBoundsCheckILm5EiEESC_Lm5ESD_iEENS6_INS7_ISA_SB_Lm4ESD_iEESH_SB_Lm5ESD_iEESI_iiiiiiiii, .Lfunc_end17-_ZN2at6native12_GLOBAL__N_143conv_depthwise3d_cuda_backward_input_kernelIffLi3ELi3ELi3ELi1ELi1ELi1ELi1ELi1ELi1EEEvN5torch10headeronly6detail27GenericPackedTensorAccessorINS5_14TensorAccessorIN3c108ArrayRefIlEEKT_Lm4ENS4_16DefaultPtrTraitsEiEENS_6detail16IndexBoundsCheckILm5EiEESC_Lm5ESD_iEENS6_INS7_ISA_SB_Lm4ESD_iEESH_SB_Lm5ESD_iEESI_iiiiiiiii
                                        ; -- End function
	.set _ZN2at6native12_GLOBAL__N_143conv_depthwise3d_cuda_backward_input_kernelIffLi3ELi3ELi3ELi1ELi1ELi1ELi1ELi1ELi1EEEvN5torch10headeronly6detail27GenericPackedTensorAccessorINS5_14TensorAccessorIN3c108ArrayRefIlEEKT_Lm4ENS4_16DefaultPtrTraitsEiEENS_6detail16IndexBoundsCheckILm5EiEESC_Lm5ESD_iEENS6_INS7_ISA_SB_Lm4ESD_iEESH_SB_Lm5ESD_iEESI_iiiiiiiii.num_vgpr, 126
	.set _ZN2at6native12_GLOBAL__N_143conv_depthwise3d_cuda_backward_input_kernelIffLi3ELi3ELi3ELi1ELi1ELi1ELi1ELi1ELi1EEEvN5torch10headeronly6detail27GenericPackedTensorAccessorINS5_14TensorAccessorIN3c108ArrayRefIlEEKT_Lm4ENS4_16DefaultPtrTraitsEiEENS_6detail16IndexBoundsCheckILm5EiEESC_Lm5ESD_iEENS6_INS7_ISA_SB_Lm4ESD_iEESH_SB_Lm5ESD_iEESI_iiiiiiiii.num_agpr, 0
	.set _ZN2at6native12_GLOBAL__N_143conv_depthwise3d_cuda_backward_input_kernelIffLi3ELi3ELi3ELi1ELi1ELi1ELi1ELi1ELi1EEEvN5torch10headeronly6detail27GenericPackedTensorAccessorINS5_14TensorAccessorIN3c108ArrayRefIlEEKT_Lm4ENS4_16DefaultPtrTraitsEiEENS_6detail16IndexBoundsCheckILm5EiEESC_Lm5ESD_iEENS6_INS7_ISA_SB_Lm4ESD_iEESH_SB_Lm5ESD_iEESI_iiiiiiiii.numbered_sgpr, 81
	.set _ZN2at6native12_GLOBAL__N_143conv_depthwise3d_cuda_backward_input_kernelIffLi3ELi3ELi3ELi1ELi1ELi1ELi1ELi1ELi1EEEvN5torch10headeronly6detail27GenericPackedTensorAccessorINS5_14TensorAccessorIN3c108ArrayRefIlEEKT_Lm4ENS4_16DefaultPtrTraitsEiEENS_6detail16IndexBoundsCheckILm5EiEESC_Lm5ESD_iEENS6_INS7_ISA_SB_Lm4ESD_iEESH_SB_Lm5ESD_iEESI_iiiiiiiii.num_named_barrier, 0
	.set _ZN2at6native12_GLOBAL__N_143conv_depthwise3d_cuda_backward_input_kernelIffLi3ELi3ELi3ELi1ELi1ELi1ELi1ELi1ELi1EEEvN5torch10headeronly6detail27GenericPackedTensorAccessorINS5_14TensorAccessorIN3c108ArrayRefIlEEKT_Lm4ENS4_16DefaultPtrTraitsEiEENS_6detail16IndexBoundsCheckILm5EiEESC_Lm5ESD_iEENS6_INS7_ISA_SB_Lm4ESD_iEESH_SB_Lm5ESD_iEESI_iiiiiiiii.private_seg_size, 0
	.set _ZN2at6native12_GLOBAL__N_143conv_depthwise3d_cuda_backward_input_kernelIffLi3ELi3ELi3ELi1ELi1ELi1ELi1ELi1ELi1EEEvN5torch10headeronly6detail27GenericPackedTensorAccessorINS5_14TensorAccessorIN3c108ArrayRefIlEEKT_Lm4ENS4_16DefaultPtrTraitsEiEENS_6detail16IndexBoundsCheckILm5EiEESC_Lm5ESD_iEENS6_INS7_ISA_SB_Lm4ESD_iEESH_SB_Lm5ESD_iEESI_iiiiiiiii.uses_vcc, 1
	.set _ZN2at6native12_GLOBAL__N_143conv_depthwise3d_cuda_backward_input_kernelIffLi3ELi3ELi3ELi1ELi1ELi1ELi1ELi1ELi1EEEvN5torch10headeronly6detail27GenericPackedTensorAccessorINS5_14TensorAccessorIN3c108ArrayRefIlEEKT_Lm4ENS4_16DefaultPtrTraitsEiEENS_6detail16IndexBoundsCheckILm5EiEESC_Lm5ESD_iEENS6_INS7_ISA_SB_Lm4ESD_iEESH_SB_Lm5ESD_iEESI_iiiiiiiii.uses_flat_scratch, 0
	.set _ZN2at6native12_GLOBAL__N_143conv_depthwise3d_cuda_backward_input_kernelIffLi3ELi3ELi3ELi1ELi1ELi1ELi1ELi1ELi1EEEvN5torch10headeronly6detail27GenericPackedTensorAccessorINS5_14TensorAccessorIN3c108ArrayRefIlEEKT_Lm4ENS4_16DefaultPtrTraitsEiEENS_6detail16IndexBoundsCheckILm5EiEESC_Lm5ESD_iEENS6_INS7_ISA_SB_Lm4ESD_iEESH_SB_Lm5ESD_iEESI_iiiiiiiii.has_dyn_sized_stack, 0
	.set _ZN2at6native12_GLOBAL__N_143conv_depthwise3d_cuda_backward_input_kernelIffLi3ELi3ELi3ELi1ELi1ELi1ELi1ELi1ELi1EEEvN5torch10headeronly6detail27GenericPackedTensorAccessorINS5_14TensorAccessorIN3c108ArrayRefIlEEKT_Lm4ENS4_16DefaultPtrTraitsEiEENS_6detail16IndexBoundsCheckILm5EiEESC_Lm5ESD_iEENS6_INS7_ISA_SB_Lm4ESD_iEESH_SB_Lm5ESD_iEESI_iiiiiiiii.has_recursion, 0
	.set _ZN2at6native12_GLOBAL__N_143conv_depthwise3d_cuda_backward_input_kernelIffLi3ELi3ELi3ELi1ELi1ELi1ELi1ELi1ELi1EEEvN5torch10headeronly6detail27GenericPackedTensorAccessorINS5_14TensorAccessorIN3c108ArrayRefIlEEKT_Lm4ENS4_16DefaultPtrTraitsEiEENS_6detail16IndexBoundsCheckILm5EiEESC_Lm5ESD_iEENS6_INS7_ISA_SB_Lm4ESD_iEESH_SB_Lm5ESD_iEESI_iiiiiiiii.has_indirect_call, 0
	.section	.AMDGPU.csdata,"",@progbits
; Kernel info:
; codeLenInByte = 4356
; TotalNumSgprs: 83
; NumVgprs: 126
; ScratchSize: 0
; MemoryBound: 0
; FloatMode: 240
; IeeeMode: 1
; LDSByteSize: 0 bytes/workgroup (compile time only)
; SGPRBlocks: 0
; VGPRBlocks: 7
; NumSGPRsForWavesPerEU: 83
; NumVGPRsForWavesPerEU: 126
; NamedBarCnt: 0
; Occupancy: 8
; WaveLimiterHint : 0
; COMPUTE_PGM_RSRC2:SCRATCH_EN: 0
; COMPUTE_PGM_RSRC2:USER_SGPR: 2
; COMPUTE_PGM_RSRC2:TRAP_HANDLER: 0
; COMPUTE_PGM_RSRC2:TGID_X_EN: 1
; COMPUTE_PGM_RSRC2:TGID_Y_EN: 0
; COMPUTE_PGM_RSRC2:TGID_Z_EN: 0
; COMPUTE_PGM_RSRC2:TIDIG_COMP_CNT: 0
	.section	.text._ZN2at6native12_GLOBAL__N_143conv_depthwise3d_cuda_backward_input_kernelIffLi3ELi3ELi3ELi1ELi1ELi1ELin1ELin1ELin1EEEvN5torch10headeronly6detail27GenericPackedTensorAccessorINS5_14TensorAccessorIN3c108ArrayRefIlEEKT_Lm4ENS4_16DefaultPtrTraitsEiEENS_6detail16IndexBoundsCheckILm5EiEESC_Lm5ESD_iEENS6_INS7_ISA_SB_Lm4ESD_iEESH_SB_Lm5ESD_iEESI_iiiiiiiii,"axG",@progbits,_ZN2at6native12_GLOBAL__N_143conv_depthwise3d_cuda_backward_input_kernelIffLi3ELi3ELi3ELi1ELi1ELi1ELin1ELin1ELin1EEEvN5torch10headeronly6detail27GenericPackedTensorAccessorINS5_14TensorAccessorIN3c108ArrayRefIlEEKT_Lm4ENS4_16DefaultPtrTraitsEiEENS_6detail16IndexBoundsCheckILm5EiEESC_Lm5ESD_iEENS6_INS7_ISA_SB_Lm4ESD_iEESH_SB_Lm5ESD_iEESI_iiiiiiiii,comdat
	.globl	_ZN2at6native12_GLOBAL__N_143conv_depthwise3d_cuda_backward_input_kernelIffLi3ELi3ELi3ELi1ELi1ELi1ELin1ELin1ELin1EEEvN5torch10headeronly6detail27GenericPackedTensorAccessorINS5_14TensorAccessorIN3c108ArrayRefIlEEKT_Lm4ENS4_16DefaultPtrTraitsEiEENS_6detail16IndexBoundsCheckILm5EiEESC_Lm5ESD_iEENS6_INS7_ISA_SB_Lm4ESD_iEESH_SB_Lm5ESD_iEESI_iiiiiiiii ; -- Begin function _ZN2at6native12_GLOBAL__N_143conv_depthwise3d_cuda_backward_input_kernelIffLi3ELi3ELi3ELi1ELi1ELi1ELin1ELin1ELin1EEEvN5torch10headeronly6detail27GenericPackedTensorAccessorINS5_14TensorAccessorIN3c108ArrayRefIlEEKT_Lm4ENS4_16DefaultPtrTraitsEiEENS_6detail16IndexBoundsCheckILm5EiEESC_Lm5ESD_iEENS6_INS7_ISA_SB_Lm4ESD_iEESH_SB_Lm5ESD_iEESI_iiiiiiiii
	.p2align	8
	.type	_ZN2at6native12_GLOBAL__N_143conv_depthwise3d_cuda_backward_input_kernelIffLi3ELi3ELi3ELi1ELi1ELi1ELin1ELin1ELin1EEEvN5torch10headeronly6detail27GenericPackedTensorAccessorINS5_14TensorAccessorIN3c108ArrayRefIlEEKT_Lm4ENS4_16DefaultPtrTraitsEiEENS_6detail16IndexBoundsCheckILm5EiEESC_Lm5ESD_iEENS6_INS7_ISA_SB_Lm4ESD_iEESH_SB_Lm5ESD_iEESI_iiiiiiiii,@function
_ZN2at6native12_GLOBAL__N_143conv_depthwise3d_cuda_backward_input_kernelIffLi3ELi3ELi3ELi1ELi1ELi1ELin1ELin1ELin1EEEvN5torch10headeronly6detail27GenericPackedTensorAccessorINS5_14TensorAccessorIN3c108ArrayRefIlEEKT_Lm4ENS4_16DefaultPtrTraitsEiEENS_6detail16IndexBoundsCheckILm5EiEESC_Lm5ESD_iEENS6_INS7_ISA_SB_Lm4ESD_iEESH_SB_Lm5ESD_iEESI_iiiiiiiii: ; @_ZN2at6native12_GLOBAL__N_143conv_depthwise3d_cuda_backward_input_kernelIffLi3ELi3ELi3ELi1ELi1ELi1ELin1ELin1ELin1EEEvN5torch10headeronly6detail27GenericPackedTensorAccessorINS5_14TensorAccessorIN3c108ArrayRefIlEEKT_Lm4ENS4_16DefaultPtrTraitsEiEENS_6detail16IndexBoundsCheckILm5EiEESC_Lm5ESD_iEENS6_INS7_ISA_SB_Lm4ESD_iEESH_SB_Lm5ESD_iEESI_iiiiiiiii
; %bb.0:
	s_clause 0x2
	s_load_b128 s[36:39], s[0:1], 0x38
	s_load_b32 s2, s[0:1], 0xc4
	s_load_b64 s[30:31], s[0:1], 0x48
	s_bfe_u32 s3, ttmp6, 0x4000c
	s_and_b32 s4, ttmp6, 15
	s_add_co_i32 s3, s3, 1
	s_getreg_b32 s5, hwreg(HW_REG_IB_STS2, 6, 4)
	s_mul_i32 s3, ttmp9, s3
	v_mov_b32_e32 v1, 0
	s_add_co_i32 s4, s4, s3
                                        ; implicit-def: $vgpr126 : SGPR spill to VGPR lane
	s_mov_b32 s53, 0
	s_wait_kmcnt 0x0
	s_abs_i32 s33, s37
	s_and_b32 s2, s2, 0xffff
	s_cmp_eq_u32 s5, 0
	s_cselect_b32 s3, ttmp9, s4
	s_mul_i32 s4, s31, s36
	v_mad_nc_u64_u32 v[2:3], s2, s3, v[0:1]
	s_cvt_f32_u32 s3, s33
	s_ashr_i32 s5, s4, 31
	v_writelane_b32 v126, s4, 0
	s_delay_alu instid0(SALU_CYCLE_1) | instskip(SKIP_1) | instid1(VALU_DEP_3)
	v_rcp_iflag_f32_e32 v0, s3
	v_writelane_b32 v126, s5, 1
	v_cmp_gt_i64_e32 vcc_lo, s[4:5], v[2:3]
	s_delay_alu instid0(TRANS32_DEP_1)
	v_readfirstlane_b32 s3, v0
	s_and_saveexec_b32 s4, vcc_lo
	s_cbranch_execz .LBB18_62
; %bb.1:
	s_clause 0x1
	s_load_b64 s[10:11], s[0:1], 0xa0
	s_load_b128 s[40:43], s[0:1], 0xc
	s_mul_f32 s3, s3, 0x4f7ffffe
	s_sub_co_i32 s8, 0, s33
	s_add_nc_u64 s[6:7], s[0:1], 0xb8
	s_ashr_i32 s9, s37, 31
	s_cvt_u32_f32 s3, s3
	s_mov_b32 s5, s53
                                        ; kill: killed $sgpr0_sgpr1
	s_mov_b32 s13, s53
	s_mov_b32 s73, s53
	s_mul_i32 s4, s8, s3
	s_mov_b32 s75, s53
	s_mul_hi_u32 s4, s3, s4
	s_mov_b32 s77, s53
	s_add_co_i32 s4, s3, s4
	s_mov_b32 s92, s53
	s_load_b128 s[48:51], s[0:1], 0x50
	s_wait_kmcnt 0x0
	v_writelane_b32 v126, s10, 2
	v_writelane_b32 v126, s11, 3
	s_clause 0x1
	s_load_b128 s[44:47], s[0:1], 0x90
	s_load_b32 s10, s[0:1], 0x7c
	s_load_b32 s3, s[6:7], 0x0
	s_wait_kmcnt 0x0
	v_writelane_b32 v126, s10, 4
	s_load_b64 s[10:11], s[0:1], 0x0
	s_abs_i32 s52, s40
	s_delay_alu instid0(SALU_CYCLE_1)
	s_mul_u64 s[4:5], s[52:53], s[4:5]
	s_ashr_i32 s4, s40, 31
	s_mul_i32 s6, s5, s33
	s_xor_b32 s4, s4, s9
	s_sub_co_i32 s6, s52, s6
	s_add_co_i32 s7, s5, 1
	s_mul_i32 s52, s3, s2
	s_wait_kmcnt 0x0
	v_writelane_b32 v126, s10, 5
	v_writelane_b32 v126, s11, 6
	s_clause 0x1
	s_load_b64 s[58:59], s[0:1], 0x1c
	s_load_b64 s[10:11], s[0:1], 0x30
	v_writelane_b32 v126, s9, 7
	s_sub_co_i32 s9, s6, s33
	s_cmp_ge_u32 s6, s33
	s_cselect_b32 s5, s7, s5
	s_cselect_b32 s6, s9, s6
	s_add_co_i32 s7, s5, 1
	s_cmp_ge_u32 s6, s33
	s_wait_kmcnt 0x0
	v_writelane_b32 v126, s10, 8
	v_writelane_b32 v126, s11, 9
	s_load_b64 s[10:11], s[0:1], 0x60
	s_wait_xcnt 0x0
	s_cselect_b32 s0, s7, s5
	s_delay_alu instid0(SALU_CYCLE_1) | instskip(NEXT) | instid1(SALU_CYCLE_1)
	s_xor_b32 s0, s0, s4
	s_sub_co_i32 s40, s0, s4
	v_readfirstlane_b32 s0, v0
	s_cmp_gt_i32 s40, 0
	s_cselect_b32 s1, -1, 0
	s_abs_i32 s80, s30
	s_abs_i32 s81, s39
	s_ashr_i32 s4, s30, 31
	s_cvt_f32_u32 s2, s81
	s_abs_i32 s82, s38
	s_abs_i32 s86, s44
	s_cvt_f32_u32 s3, s82
	v_rcp_iflag_f32_e32 v4, s2
	s_sub_co_i32 s5, 0, s81
	s_cvt_f32_u32 s7, s86
	s_wait_kmcnt 0x0
	v_writelane_b32 v126, s10, 10
	v_rcp_iflag_f32_e32 v5, s3
	s_sub_co_i32 s6, 0, s82
	s_abs_i32 s87, s45
	v_nop
	v_readfirstlane_b32 s3, v4
	v_writelane_b32 v126, s11, 11
	s_mov_b32 s11, s53
	s_abs_i32 s88, s46
	s_mul_f32 s0, s0, 0x4f7ffffe
	s_mul_f32 s3, s3, 0x4f7ffffe
	v_writelane_b32 v126, s1, 12
	s_cvt_f32_u32 s1, s80
	s_cvt_u32_f32 s0, s0
	s_cvt_u32_f32 s3, s3
	s_ashr_i32 s89, s44, 31
	v_rcp_iflag_f32_e32 v0, s1
	v_writelane_b32 v126, s4, 13
	s_ashr_i32 s1, s39, 31
	v_readfirstlane_b32 s4, v5
	s_mul_i32 s5, s5, s3
	s_mul_i32 s8, s8, s0
	v_writelane_b32 v126, s1, 14
	v_readfirstlane_b32 s2, v0
	s_ashr_i32 s1, s38, 31
	s_mul_f32 s4, s4, 0x4f7ffffe
	s_mul_hi_u32 s5, s3, s5
	v_writelane_b32 v126, s1, 15
	s_mul_f32 s2, s2, 0x4f7ffffe
	s_sub_co_i32 s1, 0, s80
	s_cvt_u32_f32 s4, s4
	v_rcp_iflag_f32_e32 v0, s7
	s_cvt_u32_f32 s2, s2
	s_add_co_i32 s12, s3, s5
	s_mul_i32 s6, s6, s4
	s_mov_b32 s5, s53
	s_mul_i32 s1, s1, s2
	s_mul_hi_u32 s3, s0, s8
	s_mul_hi_u32 s1, s2, s1
	s_mov_b32 s7, s53
	s_add_co_i32 s10, s2, s1
	s_mul_hi_u32 s1, s4, s6
	v_writelane_b32 v126, s10, 16
	s_add_co_i32 s4, s4, s1
	s_cvt_f32_u32 s1, s87
	v_readfirstlane_b32 s2, v0
	s_add_co_i32 s6, s0, s3
	v_writelane_b32 v126, s11, 17
	v_rcp_iflag_f32_e32 v0, s1
	s_cvt_f32_u32 s1, s88
	s_mul_f32 s2, s2, 0x4f7ffffe
	s_ashr_i32 s90, s45, 31
	v_writelane_b32 v126, s12, 18
	v_rcp_iflag_f32_e32 v4, s1
	s_cvt_u32_f32 s2, s2
	v_nop
	v_readfirstlane_b32 s1, v0
	s_ashr_i32 s91, s46, 31
	v_writelane_b32 v126, s13, 19
	s_delay_alu instid0(TRANS32_DEP_1) | instskip(SKIP_4) | instid1(SALU_CYCLE_1)
	v_readfirstlane_b32 s3, v4
	s_mul_f32 s1, s1, 0x4f7ffffe
	v_writelane_b32 v126, s4, 20
	v_writelane_b32 v126, s5, 21
	s_sub_co_i32 s4, 0, s86
	s_mul_i32 s4, s4, s2
	s_delay_alu instid0(SALU_CYCLE_1)
	s_mul_hi_u32 s0, s2, s4
	v_writelane_b32 v126, s6, 22
	s_add_co_i32 s72, s2, s0
	s_cvt_u32_f32 s0, s1
	s_mul_f32 s1, s3, 0x4f7ffffe
	s_sub_co_i32 s2, 0, s87
	s_sub_co_i32 s3, 0, s88
	s_mul_i32 s2, s2, s0
	s_cvt_u32_f32 s1, s1
	s_mul_hi_u32 s2, s0, s2
	v_writelane_b32 v126, s7, 23
	s_add_co_i32 s74, s0, s2
	s_mul_i32 s3, s3, s1
	s_delay_alu instid0(SALU_CYCLE_1) | instskip(NEXT) | instid1(SALU_CYCLE_1)
	s_mul_hi_u32 s0, s1, s3
	s_add_co_i32 s76, s1, s0
	s_branch .LBB18_4
.LBB18_2:                               ;   in Loop: Header=BB18_4 Depth=1
	s_or_b32 exec_lo, exec_lo, s93
.LBB18_3:                               ;   in Loop: Header=BB18_4 Depth=1
	v_mul_lo_u32 v4, v69, s31
	v_mul_lo_u32 v6, s48, v70
	;; [unrolled: 1-line block ×3, first 2 shown]
	v_readlane_b32 s0, v126, 8
	v_readlane_b32 s1, v126, 9
	v_mul_lo_u32 v10, s50, v67
	v_mul_lo_u32 v12, s51, v66
	v_add_nc_u64_e32 v[2:3], s[52:53], v[2:3]
	v_dual_ashrrev_i32 v5, 31, v4 :: v_dual_ashrrev_i32 v7, 31, v6
	s_delay_alu instid0(VALU_DEP_4) | instskip(NEXT) | instid1(VALU_DEP_2)
	v_dual_ashrrev_i32 v9, 31, v8 :: v_dual_ashrrev_i32 v11, 31, v10
	v_lshl_add_u64 v[4:5], v[4:5], 2, s[0:1]
	v_readlane_b32 s0, v126, 0
	v_readlane_b32 s1, v126, 1
	v_ashrrev_i32_e32 v13, 31, v12
	s_delay_alu instid0(VALU_DEP_4) | instskip(NEXT) | instid1(VALU_DEP_3)
	v_lshl_add_u64 v[4:5], v[6:7], 2, v[4:5]
	v_cmp_le_i64_e32 vcc_lo, s[0:1], v[2:3]
	s_delay_alu instid0(VALU_DEP_2) | instskip(SKIP_1) | instid1(VALU_DEP_1)
	v_lshl_add_u64 v[4:5], v[8:9], 2, v[4:5]
	s_or_b32 s92, vcc_lo, s92
	v_lshl_add_u64 v[4:5], v[10:11], 2, v[4:5]
	s_delay_alu instid0(VALU_DEP_1)
	v_lshl_add_u64 v[4:5], v[12:13], 2, v[4:5]
	global_store_b32 v[4:5], v72, off
	s_wait_xcnt 0x0
	s_and_not1_b32 exec_lo, exec_lo, s92
	s_cbranch_execz .LBB18_62
.LBB18_4:                               ; =>This Loop Header: Depth=1
                                        ;     Child Loop BB18_7 Depth 2
	v_sub_nc_u32_e32 v0, 0, v2
	v_readlane_b32 s0, v126, 16
	v_readlane_b32 s1, v126, 17
	s_delay_alu instid0(VALU_DEP_3) | instskip(NEXT) | instid1(VALU_DEP_1)
	v_max_i32_e32 v0, v2, v0
	v_mul_u64_e32 v[4:5], s[0:1], v[0:1]
	v_readlane_b32 s0, v126, 13
	s_delay_alu instid0(VALU_DEP_2) | instskip(NEXT) | instid1(VALU_DEP_1)
	v_mul_lo_u32 v4, v5, s80
	v_dual_sub_nc_u32 v0, v0, v4 :: v_dual_add_nc_u32 v4, 1, v5
	s_delay_alu instid0(VALU_DEP_1) | instskip(NEXT) | instid1(VALU_DEP_2)
	v_cmp_le_u32_e32 vcc_lo, s80, v0
	v_cndmask_b32_e32 v4, v5, v4, vcc_lo
	v_subrev_nc_u32_e32 v6, s80, v0
	v_ashrrev_i32_e32 v5, 31, v2
	s_delay_alu instid0(VALU_DEP_2) | instskip(NEXT) | instid1(VALU_DEP_1)
	v_dual_cndmask_b32 v0, v0, v6, vcc_lo :: v_dual_add_nc_u32 v6, 1, v4
	v_cmp_le_u32_e32 vcc_lo, s80, v0
	s_delay_alu instid0(VALU_DEP_3) | instskip(SKIP_3) | instid1(VALU_DEP_1)
	v_xor_b32_e32 v5, s0, v5
	v_readlane_b32 s0, v126, 18
	v_readlane_b32 s1, v126, 19
	v_cndmask_b32_e32 v0, v4, v6, vcc_lo
	v_xor_b32_e32 v0, v0, v5
	s_delay_alu instid0(VALU_DEP_1) | instskip(NEXT) | instid1(VALU_DEP_1)
	v_sub_nc_u32_e32 v6, v0, v5
	v_sub_nc_u32_e32 v0, 0, v6
	s_delay_alu instid0(VALU_DEP_1) | instskip(NEXT) | instid1(VALU_DEP_1)
	v_max_i32_e32 v0, v6, v0
	v_mul_u64_e32 v[4:5], s[0:1], v[0:1]
	v_readlane_b32 s0, v126, 14
	s_delay_alu instid0(VALU_DEP_2) | instskip(NEXT) | instid1(VALU_DEP_1)
	v_mul_lo_u32 v4, v5, s81
	v_dual_sub_nc_u32 v0, v0, v4 :: v_dual_add_nc_u32 v4, 1, v5
	s_delay_alu instid0(VALU_DEP_1) | instskip(SKIP_1) | instid1(VALU_DEP_2)
	v_subrev_nc_u32_e32 v7, s81, v0
	v_cmp_le_u32_e32 vcc_lo, s81, v0
	v_dual_cndmask_b32 v4, v5, v4, vcc_lo :: v_dual_cndmask_b32 v0, v0, v7, vcc_lo
	s_delay_alu instid0(VALU_DEP_1) | instskip(NEXT) | instid1(VALU_DEP_2)
	v_dual_ashrrev_i32 v5, 31, v6 :: v_dual_add_nc_u32 v7, 1, v4
	v_cmp_le_u32_e32 vcc_lo, s81, v0
	s_delay_alu instid0(VALU_DEP_2) | instskip(SKIP_3) | instid1(VALU_DEP_1)
	v_xor_b32_e32 v5, s0, v5
	v_readlane_b32 s0, v126, 20
	v_readlane_b32 s1, v126, 21
	v_cndmask_b32_e32 v0, v4, v7, vcc_lo
	v_xor_b32_e32 v0, v0, v5
	s_delay_alu instid0(VALU_DEP_1) | instskip(NEXT) | instid1(VALU_DEP_1)
	v_sub_nc_u32_e32 v7, v0, v5
	v_sub_nc_u32_e32 v0, 0, v7
	s_delay_alu instid0(VALU_DEP_1) | instskip(NEXT) | instid1(VALU_DEP_1)
	v_max_i32_e32 v0, v7, v0
	v_mul_u64_e32 v[4:5], s[0:1], v[0:1]
	v_readlane_b32 s0, v126, 15
	s_delay_alu instid0(VALU_DEP_2) | instskip(NEXT) | instid1(VALU_DEP_1)
	v_mul_lo_u32 v4, v5, s82
	v_dual_sub_nc_u32 v0, v0, v4 :: v_dual_add_nc_u32 v4, 1, v5
	s_delay_alu instid0(VALU_DEP_1) | instskip(SKIP_1) | instid1(VALU_DEP_3)
	v_subrev_nc_u32_e32 v8, s82, v0
	v_cmp_le_u32_e32 vcc_lo, s82, v0
	v_dual_cndmask_b32 v4, v5, v4 :: v_dual_ashrrev_i32 v5, 31, v7
	s_delay_alu instid0(VALU_DEP_1) | instskip(NEXT) | instid1(VALU_DEP_2)
	v_dual_cndmask_b32 v0, v0, v8, vcc_lo :: v_dual_bitop2_b32 v5, s0, v5 bitop3:0x14
	v_add_nc_u32_e32 v8, 1, v4
	s_delay_alu instid0(VALU_DEP_2) | instskip(SKIP_2) | instid1(VALU_DEP_4)
	v_cmp_le_u32_e32 vcc_lo, s82, v0
	v_readlane_b32 s0, v126, 22
	v_readlane_b32 s1, v126, 23
	v_cndmask_b32_e32 v0, v4, v8, vcc_lo
	s_delay_alu instid0(VALU_DEP_1) | instskip(NEXT) | instid1(VALU_DEP_1)
	v_xor_b32_e32 v0, v0, v5
	v_sub_nc_u32_e32 v8, v0, v5
	s_delay_alu instid0(VALU_DEP_1) | instskip(NEXT) | instid1(VALU_DEP_1)
	v_sub_nc_u32_e32 v0, 0, v8
	v_max_i32_e32 v0, v8, v0
	s_delay_alu instid0(VALU_DEP_1) | instskip(SKIP_1) | instid1(VALU_DEP_2)
	v_mul_u64_e32 v[4:5], s[0:1], v[0:1]
	v_readlane_b32 s0, v126, 7
	v_mul_lo_u32 v4, v5, s33
	s_delay_alu instid0(VALU_DEP_1) | instskip(NEXT) | instid1(VALU_DEP_1)
	v_dual_sub_nc_u32 v0, v0, v4 :: v_dual_add_nc_u32 v4, 1, v5
	v_subrev_nc_u32_e32 v9, s33, v0
	v_cmp_le_u32_e32 vcc_lo, s33, v0
	s_delay_alu instid0(VALU_DEP_2) | instskip(SKIP_1) | instid1(VALU_DEP_2)
	v_dual_cndmask_b32 v4, v5, v4, vcc_lo :: v_dual_cndmask_b32 v0, v0, v9, vcc_lo
	v_ashrrev_i32_e32 v5, 31, v8
	v_add_nc_u32_e32 v9, 1, v4
	s_delay_alu instid0(VALU_DEP_3) | instskip(NEXT) | instid1(VALU_DEP_3)
	v_cmp_le_u32_e32 vcc_lo, s33, v0
	v_xor_b32_e32 v5, s0, v5
	v_readlane_b32 s0, v126, 12
	s_delay_alu instid0(VALU_DEP_4) | instskip(SKIP_2) | instid1(VALU_DEP_1)
	v_cndmask_b32_e32 v0, v4, v9, vcc_lo
	v_mul_lo_u32 v4, v7, s39
	s_and_not1_b32 vcc_lo, exec_lo, s0
	v_dual_sub_nc_u32 v67, v6, v4 :: v_dual_bitop2_b32 v0, v0, v5 bitop3:0x14
	s_delay_alu instid0(VALU_DEP_1) | instskip(SKIP_2) | instid1(VALU_DEP_2)
	v_sub_nc_u32_e32 v69, v0, v5
	v_mul_lo_u32 v0, v6, s30
	v_mul_lo_u32 v5, v8, s38
	v_sub_nc_u32_e32 v66, v2, v0
	s_delay_alu instid0(VALU_DEP_4) | instskip(NEXT) | instid1(VALU_DEP_3)
	v_mul_lo_u32 v9, v69, s37
	v_sub_nc_u32_e32 v68, v7, v5
	s_delay_alu instid0(VALU_DEP_2)
	v_sub_nc_u32_e32 v70, v8, v9
	s_cbranch_vccnz .LBB18_61
; %bb.5:                                ;   in Loop: Header=BB18_4 Depth=1
	v_readlane_b32 s0, v126, 2
	s_delay_alu instid0(VALU_DEP_3) | instskip(SKIP_3) | instid1(VALU_DEP_4)
	v_add_nc_u32_e32 v14, s47, v68
	v_readlane_b32 s1, v126, 3
	v_mul_lo_u32 v71, v70, s40
	v_mul_lo_u32 v12, s58, v69
	v_dual_add_nc_u32 v15, s0, v67 :: v_dual_sub_nc_u32 v0, 0, v14
	v_dual_ashrrev_i32 v13, 31, v14 :: v_dual_sub_nc_u32 v27, 2, v14
	s_delay_alu instid0(VALU_DEP_2) | instskip(NEXT) | instid1(VALU_DEP_3)
	v_dual_add_nc_u32 v23, -1, v14 :: v_dual_sub_nc_u32 v5, 0, v15
	v_dual_add_nc_u32 v17, s1, v66 :: v_dual_max_i32 v0, v14, v0
	v_dual_ashrrev_i32 v18, 31, v15 :: v_dual_sub_nc_u32 v20, 1, v15
	v_add_nc_u32_e32 v26, -2, v14
	s_delay_alu instid0(VALU_DEP_3) | instskip(NEXT) | instid1(VALU_DEP_4)
	v_mul_u64_e32 v[6:7], s[72:73], v[0:1]
	v_dual_ashrrev_i32 v19, 31, v17 :: v_dual_add_nc_u32 v24, -1, v15
	s_delay_alu instid0(VALU_DEP_3) | instskip(SKIP_1) | instid1(VALU_DEP_2)
	v_dual_ashrrev_i32 v34, 31, v23 :: v_dual_ashrrev_i32 v33, 31, v26
	s_mul_i32 s0, s59, s40
	v_dual_ashrrev_i32 v25, 31, v24 :: v_dual_bitop2_b32 v32, s91, v19 bitop3:0x14
	v_dual_sub_nc_u32 v28, 1, v14 :: v_dual_add_nc_u32 v46, -1, v17
	v_dual_sub_nc_u32 v29, 1, v17 :: v_dual_add_nc_u32 v64, -2, v17
	v_dual_sub_nc_u32 v22, 2, v17 :: v_dual_bitop2_b32 v31, s90, v18 bitop3:0x14
	s_delay_alu instid0(VALU_DEP_3) | instskip(SKIP_1) | instid1(VALU_DEP_3)
	v_ashrrev_i32_e32 v35, 31, v46
	s_mov_b32 s93, 0
	v_dual_ashrrev_i32 v36, 31, v64 :: v_dual_add_nc_u32 v16, -2, v15
	v_dual_mov_b32 v72, 0 :: v_dual_bitop2_b32 v30, s89, v13 bitop3:0x14
	s_delay_alu instid0(VALU_DEP_2) | instskip(SKIP_1) | instid1(VALU_DEP_1)
	v_dual_add_nc_u32 v73, s40, v71 :: v_dual_ashrrev_i32 v19, 31, v16
	v_mul_lo_u32 v4, v7, s86
	v_dual_sub_nc_u32 v6, v0, v4 :: v_dual_max_i32 v0, v15, v5
	s_delay_alu instid0(VALU_DEP_1) | instskip(NEXT) | instid1(VALU_DEP_2)
	v_cmp_le_u32_e32 vcc_lo, s86, v6
	v_mul_u64_e32 v[8:9], s[74:75], v[0:1]
	v_subrev_nc_u32_e32 v38, s86, v6
	v_xor_b32_e32 v34, s89, v34
	s_delay_alu instid0(VALU_DEP_2) | instskip(NEXT) | instid1(VALU_DEP_4)
	v_cndmask_b32_e32 v6, v6, v38, vcc_lo
	v_mul_lo_u32 v4, v9, s87
	s_delay_alu instid0(VALU_DEP_1) | instskip(NEXT) | instid1(VALU_DEP_1)
	v_dual_sub_nc_u32 v5, 0, v17 :: v_dual_sub_nc_u32 v8, v0, v4
	v_max_i32_e32 v0, v17, v5
	s_delay_alu instid0(VALU_DEP_1) | instskip(NEXT) | instid1(VALU_DEP_1)
	v_mul_u64_e32 v[10:11], s[76:77], v[0:1]
	v_mul_lo_u32 v4, v11, s88
	s_delay_alu instid0(VALU_DEP_1) | instskip(NEXT) | instid1(VALU_DEP_1)
	v_dual_sub_nc_u32 v5, 2, v15 :: v_dual_sub_nc_u32 v10, v0, v4
	v_max_i32_e32 v0, v16, v5
	s_delay_alu instid0(VALU_DEP_1) | instskip(SKIP_2) | instid1(VALU_DEP_1)
	v_mul_u64_e32 v[4:5], s[74:75], v[0:1]
	v_mul_lo_u32 v4, s0, v70
	v_readlane_b32 s0, v126, 4
	v_mul_lo_u32 v18, s0, v71
	v_readlane_b32 s0, v126, 5
	v_readlane_b32 s1, v126, 6
	v_mul_lo_u32 v13, v5, s87
	s_delay_alu instid0(VALU_DEP_1) | instskip(NEXT) | instid1(VALU_DEP_1)
	v_dual_add_nc_u32 v21, 1, v7 :: v_dual_sub_nc_u32 v37, v0, v13
	v_dual_cndmask_b32 v7, v7, v21 :: v_dual_max_i32 v0, v24, v20
	v_xor_b32_e32 v39, s90, v25
	v_dual_add_nc_u32 v25, 1, v9 :: v_dual_ashrrev_i32 v13, 31, v12
	s_delay_alu instid0(VALU_DEP_3) | instskip(SKIP_3) | instid1(VALU_DEP_2)
	v_mul_u64_e32 v[20:21], s[74:75], v[0:1]
	v_xor_b32_e32 v20, s90, v19
	v_add_nc_u32_e32 v19, 1, v7
	v_cmp_le_u32_e32 vcc_lo, s86, v6
	v_dual_cndmask_b32 v6, v7, v19, vcc_lo :: v_dual_bitop2_b32 v33, s89, v33 bitop3:0x14
	v_subrev_nc_u32_e32 v7, s87, v8
	v_cmp_le_u32_e32 vcc_lo, s87, v8
	v_ashrrev_i32_e32 v19, 31, v18
	s_delay_alu instid0(VALU_DEP_3) | instskip(SKIP_2) | instid1(VALU_DEP_3)
	v_dual_cndmask_b32 v7, v8, v7, vcc_lo :: v_dual_bitop2_b32 v6, v6, v30 bitop3:0x14
	v_dual_cndmask_b32 v9, v9, v25, vcc_lo :: v_dual_bitop2_b32 v25, s91, v35 bitop3:0x14
	v_xor_b32_e32 v48, s91, v36
	v_cmp_le_u32_e32 vcc_lo, s87, v7
	s_delay_alu instid0(VALU_DEP_3) | instskip(NEXT) | instid1(VALU_DEP_1)
	v_dual_add_nc_u32 v8, 1, v9 :: v_dual_sub_nc_u32 v47, v6, v30
	v_dual_cndmask_b32 v7, v9, v8 :: v_dual_add_nc_u32 v6, 1, v11
	v_cmp_le_u32_e32 vcc_lo, s88, v10
	s_delay_alu instid0(VALU_DEP_3) | instskip(SKIP_4) | instid1(VALU_DEP_4)
	v_mul_lo_u32 v30, v47, s44
	v_subrev_nc_u32_e32 v8, s88, v10
	v_mul_lo_u32 v35, v47, s42
	v_cmp_gt_i32_e64 s26, s41, v47
	v_mul_lo_u32 v40, v21, s87
	v_dual_cndmask_b32 v11, v11, v6 :: v_dual_cndmask_b32 v10, v10, v8
	v_xor_b32_e32 v36, v7, v31
	v_lshl_add_u64 v[6:7], v[12:13], 2, s[0:1]
	v_readlane_b32 s0, v126, 10
	v_readlane_b32 s1, v126, 11
	v_add_nc_u32_e32 v38, 1, v11
	v_cmp_le_u32_e32 vcc_lo, s88, v10
	s_delay_alu instid0(VALU_DEP_3)
	v_lshl_add_u64 v[8:9], v[18:19], 2, s[0:1]
	v_cmp_eq_u32_e64 s1, v30, v14
	v_sub_nc_u32_e32 v14, v0, v40
	v_dual_cndmask_b32 v10, v11, v38 :: v_dual_sub_nc_u32 v49, v36, v31
	v_add_nc_u32_e32 v18, 1, v5
	v_cmp_le_u32_e32 vcc_lo, s87, v37
	v_max_i32_e32 v0, v26, v27
	s_delay_alu instid0(VALU_DEP_4) | instskip(SKIP_3) | instid1(VALU_DEP_4)
	v_dual_add_nc_u32 v12, v49, v35 :: v_dual_bitop2_b32 v10, v10, v32 bitop3:0x14
	v_mul_lo_u32 v11, v49, s45
	v_cndmask_b32_e32 v5, v5, v18, vcc_lo
	v_cmp_le_u32_e64 s0, s87, v14
	v_mul_lo_u32 v50, v12, s43
	v_mul_u64_e32 v[12:13], s[72:73], v[0:1]
	v_sub_nc_u32_e32 v30, v10, v32
	v_subrev_nc_u32_e32 v10, s87, v37
	v_add_nc_u32_e32 v12, 1, v5
	v_cmp_gt_i32_e64 s17, s42, v49
	s_delay_alu instid0(VALU_DEP_3) | instskip(SKIP_3) | instid1(VALU_DEP_4)
	v_cndmask_b32_e32 v10, v37, v10, vcc_lo
	v_cmp_eq_u32_e64 s5, v11, v15
	v_mul_lo_u32 v11, v30, s46
	v_cmp_gt_i32_e64 s2, s43, v30
	v_cmp_le_u32_e32 vcc_lo, s87, v10
	v_or_b32_e32 v31, v30, v49
	s_and_b32 s36, s1, s5
	s_and_b32 s12, s2, s17
	s_delay_alu instid0(VALU_DEP_1) | instskip(SKIP_2) | instid1(VALU_DEP_3)
	v_dual_cndmask_b32 v5, v5, v12, vcc_lo :: v_dual_bitop2_b32 v15, v31, v47 bitop3:0x54
	v_add_nc_u32_e32 v10, v30, v50
	v_cmp_eq_u32_e64 s7, v11, v17
	v_dual_add_nc_u32 v12, 1, v21 :: v_dual_bitop2_b32 v5, v5, v20 bitop3:0x14
	s_delay_alu instid0(VALU_DEP_4) | instskip(NEXT) | instid1(VALU_DEP_4)
	v_cmp_lt_i32_e32 vcc_lo, -1, v15
	v_ashrrev_i32_e32 v11, 31, v10
	v_subrev_nc_u32_e32 v15, s87, v14
	s_delay_alu instid0(VALU_DEP_4) | instskip(SKIP_2) | instid1(VALU_DEP_2)
	v_sub_nc_u32_e32 v5, v5, v20
	s_and_b32 s3, s12, vcc_lo
	s_and_b32 vcc_lo, s36, s7
	v_dual_cndmask_b32 v14, v14, v15, s0 :: v_dual_cndmask_b32 v12, v21, v12, s0
	s_delay_alu instid0(VALU_DEP_2) | instskip(SKIP_2) | instid1(VALU_DEP_4)
	v_or_b32_e32 v32, v30, v5
	v_mul_lo_u32 v18, v13, s86
	v_mul_lo_u32 v17, v5, s45
	v_dual_add_nc_u32 v19, v5, v35 :: v_dual_add_nc_u32 v15, 1, v12
	v_cmp_le_u32_e64 s0, s87, v14
	v_or_b32_e32 v20, v32, v47
	v_cmp_gt_i32_e64 s18, s42, v5
	s_delay_alu instid0(VALU_DEP_4)
	v_mul_lo_u32 v51, v19, s43
	s_and_b32 s94, s3, s26
	v_dual_cndmask_b32 v12, v12, v15, s0 :: v_dual_add_nc_u32 v15, 1, v13
	v_dual_sub_nc_u32 v14, v0, v18 :: v_dual_max_i32 v0, v23, v28
	v_cmp_eq_u32_e64 s6, v17, v16
	v_cmp_lt_i32_e64 s0, -1, v20
	s_and_b32 s13, s2, s18
	v_mul_u64_e32 v[16:17], s[72:73], v[0:1]
	v_subrev_nc_u32_e32 v16, s86, v14
	s_and_b32 s3, s13, s0
	v_cmp_le_u32_e64 s0, s86, v14
	v_xor_b32_e32 v12, v12, v39
	s_and_b32 s95, s3, s26
	s_and_b32 s61, s1, s6
	v_dual_cndmask_b32 v13, v13, v15, s0 :: v_dual_cndmask_b32 v14, v14, v16, s0
	s_delay_alu instid0(VALU_DEP_2) | instskip(NEXT) | instid1(VALU_DEP_2)
	v_sub_nc_u32_e32 v52, v12, v39
	v_dual_add_nc_u32 v12, v30, v51 :: v_dual_add_nc_u32 v16, 1, v13
	s_delay_alu instid0(VALU_DEP_3) | instskip(NEXT) | instid1(VALU_DEP_3)
	v_cmp_le_u32_e64 s0, s86, v14
	v_dual_add_nc_u32 v18, v52, v35 :: v_dual_bitop2_b32 v28, v30, v52 bitop3:0x54
	v_mul_lo_u32 v15, v52, s45
	v_cmp_gt_i32_e64 s19, s42, v52
	s_delay_alu instid0(VALU_DEP_3) | instskip(NEXT) | instid1(VALU_DEP_4)
	v_dual_cndmask_b32 v13, v13, v16, s0 :: v_dual_bitop2_b32 v19, v28, v47 bitop3:0x54
	v_mul_lo_u32 v53, v18, s43
	s_and_b32 s0, s61, s7
	s_and_b32 s14, s2, s19
	v_cmp_eq_u32_e64 s8, v15, v24
	v_mul_lo_u32 v20, v17, s86
	s_delay_alu instid0(VALU_DEP_3)
	v_add_nc_u32_e32 v14, v30, v53
	v_dual_ashrrev_i32 v13, 31, v12 :: v_dual_bitop2_b32 v16, v13, v33 bitop3:0x14
	v_cmp_lt_i32_e64 s3, -1, v19
	s_and_b32 s79, s1, s8
	v_dual_ashrrev_i32 v15, 31, v14 :: v_dual_sub_nc_u32 v57, v16, v33
	s_and_b32 s1, s79, s7
	s_and_b32 s2, s14, s3
	s_delay_alu instid0(SALU_CYCLE_1) | instskip(NEXT) | instid1(VALU_DEP_1)
	s_and_b32 s96, s2, s26
	v_mul_lo_u32 v24, v57, s42
	v_or_b32_e32 v19, v32, v57
	s_delay_alu instid0(VALU_DEP_1) | instskip(NEXT) | instid1(VALU_DEP_3)
	v_cmp_lt_i32_e64 s4, -1, v19
	v_add_nc_u32_e32 v19, v49, v24
	v_mul_lo_u32 v21, v57, s44
	v_or_b32_e32 v16, v31, v57
	v_or_b32_e32 v18, v28, v57
	v_cmp_gt_i32_e64 s27, s41, v57
	v_mul_lo_u32 v58, v19, s43
	s_and_b32 s4, s13, s4
	v_cmp_lt_i32_e64 s3, -1, v18
	v_sub_nc_u32_e32 v18, v0, v20
	v_add_nc_u32_e32 v20, v52, v24
	v_cmp_lt_i32_e64 s2, -1, v16
	s_and_b32 s99, s4, s27
	s_and_b32 s10, s14, s3
	v_cmp_le_u32_e64 s3, s86, v18
	v_mul_lo_u32 v59, v20, s43
	s_and_b32 s9, s12, s2
	v_cmp_eq_u32_e64 s2, v21, v26
	v_add_nc_u32_e32 v21, v5, v24
	v_subrev_nc_u32_e32 v24, s86, v18
	v_add_nc_u32_e32 v16, 1, v17
	s_and_b32 s97, s9, s27
	s_and_b32 s98, s10, s27
	v_mul_lo_u32 v61, v21, s43
	s_and_b32 s83, s2, s5
	v_dual_cndmask_b32 v16, v17, v16, s3 :: v_dual_max_i32 v0, v46, v29
	v_cndmask_b32_e64 v17, v18, v24, s3
	s_and_b32 s84, s2, s8
	s_and_b32 s85, s2, s6
	s_delay_alu instid0(VALU_DEP_2)
	v_add_nc_u32_e32 v18, 1, v16
	v_mul_u64_e32 v[26:27], s[76:77], v[0:1]
	v_cmp_le_u32_e64 s3, s86, v17
	s_and_b32 s2, s83, s7
	v_add_nc_u32_e32 v20, v30, v61
	s_and_b32 s4, s85, s7
	v_dual_cndmask_b32 v16, v16, v18, s3 :: v_dual_add_nc_u32 v18, v30, v59
	s_delay_alu instid0(VALU_DEP_2) | instskip(SKIP_1) | instid1(VALU_DEP_2)
	v_ashrrev_i32_e32 v21, 31, v20
	s_and_b32 s3, s84, s7
	v_xor_b32_e32 v17, v16, v34
	v_add_nc_u32_e32 v16, v30, v58
	s_delay_alu instid0(VALU_DEP_1) | instskip(NEXT) | instid1(VALU_DEP_1)
	v_dual_sub_nc_u32 v63, v17, v34 :: v_dual_ashrrev_i32 v17, 31, v16
	v_dual_ashrrev_i32 v19, 31, v18 :: v_dual_bitop2_b32 v24, v31, v63 bitop3:0x54
	v_mul_lo_u32 v29, v63, s44
	v_mul_lo_u32 v31, v63, s42
	v_cmp_gt_i32_e64 s28, s41, v63
	s_delay_alu instid0(VALU_DEP_4)
	v_cmp_lt_i32_e64 s9, -1, v24
	s_and_b32 s12, s12, s9
	v_add_nc_u32_e32 v24, 1, v27
	v_or_b32_e32 v26, v28, v63
	v_or_b32_e32 v28, v32, v63
	v_mul_lo_u32 v32, v27, s88
	v_cmp_eq_u32_e64 s9, v29, v23
	v_add_nc_u32_e32 v23, v49, v31
	v_cmp_lt_i32_e64 s10, -1, v26
	v_add_nc_u32_e32 v26, v52, v31
	s_and_b32 s100, s12, s28
	s_and_b32 s64, s9, s5
	v_mul_lo_u32 v56, v23, s43
	s_and_b32 s10, s14, s10
	v_mul_lo_u32 v60, v26, s43
	s_and_b32 s101, s10, s28
	v_sub_nc_u32_e32 v0, v0, v32
	s_and_b32 s65, s9, s8
	s_and_b32 s66, s9, s6
	;; [unrolled: 1-line block ×3, first 2 shown]
	s_delay_alu instid0(VALU_DEP_1) | instskip(SKIP_1) | instid1(VALU_DEP_1)
	v_cmp_le_u32_e64 s10, s88, v0
	v_subrev_nc_u32_e32 v29, s88, v0
	v_dual_cndmask_b32 v24, v27, v24, s10 :: v_dual_cndmask_b32 v0, v0, v29, s10
	s_delay_alu instid0(VALU_DEP_1) | instskip(SKIP_2) | instid1(VALU_DEP_4)
	v_add_nc_u32_e32 v23, 1, v24
	v_cmp_lt_i32_e64 s11, -1, v28
	v_add_nc_u32_e32 v28, v5, v31
	v_cmp_le_u32_e64 s5, s88, v0
	v_dual_add_nc_u32 v22, v30, v56 :: v_dual_max_i32 v0, v64, v22
	s_and_b32 s11, s13, s11
	v_mul_lo_u32 v62, v28, s43
	v_dual_cndmask_b32 v23, v24, v23, s5 :: v_dual_add_nc_u32 v24, v30, v60
	s_delay_alu instid0(VALU_DEP_3) | instskip(SKIP_2) | instid1(VALU_DEP_2)
	v_mul_u64_e32 v[54:55], s[76:77], v[0:1]
	s_and_b32 s102, s11, s28
	s_and_b32 s5, s64, s7
	v_xor_b32_e32 v23, v23, v25
	s_and_b32 s7, s66, s7
	s_delay_alu instid0(VALU_DEP_1) | instskip(SKIP_1) | instid1(VALU_DEP_2)
	v_dual_add_nc_u32 v26, v30, v62 :: v_dual_sub_nc_u32 v29, v23, v25
	v_dual_ashrrev_i32 v23, 31, v22 :: v_dual_ashrrev_i32 v25, 31, v24
	v_dual_ashrrev_i32 v27, 31, v26 :: v_dual_bitop2_b32 v35, v29, v49 bitop3:0x54
	v_add_nc_u32_e32 v32, v29, v51
	v_mul_lo_u32 v54, v29, s46
	v_dual_add_nc_u32 v36, v29, v60 :: v_dual_add_nc_u32 v40, v29, v58
	s_delay_alu instid0(VALU_DEP_4) | instskip(SKIP_2) | instid1(VALU_DEP_4)
	v_or_b32_e32 v77, v35, v63
	v_cmp_gt_i32_e64 s8, s43, v29
	v_dual_add_nc_u32 v28, v29, v50 :: v_dual_bitop2_b32 v31, v29, v5 bitop3:0x54
	v_ashrrev_i32_e32 v37, 31, v36
	s_delay_alu instid0(VALU_DEP_4)
	v_cmp_lt_i32_e64 s11, -1, v77
	s_and_b32 s21, s8, s17
	v_dual_add_nc_u32 v34, v29, v56 :: v_dual_add_nc_u32 v38, v29, v62
	v_or_b32_e32 v65, v35, v47
	v_or_b32_e32 v76, v35, v57
	v_cmp_eq_u32_e64 s20, v54, v46
	s_and_b32 s56, s21, s11
	v_mul_lo_u32 v82, v55, s88
	v_dual_add_nc_u32 v83, 1, v55 :: v_dual_bitop2_b32 v33, v29, v52 bitop3:0x54
	v_dual_add_nc_u32 v30, v29, v53 :: v_dual_add_nc_u32 v42, v29, v59
	v_dual_add_nc_u32 v44, v29, v61 :: v_dual_ashrrev_i32 v29, 31, v28
	s_and_b32 s22, s8, s19
	s_and_b32 s23, s8, s18
	v_ashrrev_i32_e32 v35, 31, v34
	v_cmp_lt_i32_e64 s8, -1, v65
	v_sub_nc_u32_e32 v0, v0, v82
	v_cmp_lt_i32_e64 s14, -1, v76
	v_or_b32_e32 v74, v33, v47
	v_or_b32_e32 v75, v31, v47
	s_and_b32 s24, s21, s8
	v_subrev_nc_u32_e32 v46, s88, v0
	v_cmp_le_u32_e64 s11, s88, v0
	s_and_b32 s21, s21, s14
	v_dual_ashrrev_i32 v39, 31, v38 :: v_dual_bitop2_b32 v78, v33, v57 bitop3:0x54
	v_dual_ashrrev_i32 v41, 31, v40 :: v_dual_bitop2_b32 v79, v33, v63 bitop3:0x54
	v_dual_cndmask_b32 v54, v55, v83, s11 :: v_dual_cndmask_b32 v0, v0, v46, s11
	v_dual_ashrrev_i32 v43, 31, v42 :: v_dual_bitop2_b32 v80, v31, v63 bitop3:0x54
	v_dual_ashrrev_i32 v45, 31, v44 :: v_dual_bitop2_b32 v81, v31, v57 bitop3:0x54
	s_delay_alu instid0(VALU_DEP_3) | instskip(NEXT) | instid1(VALU_DEP_4)
	v_add_nc_u32_e32 v46, 1, v54
	v_cmp_le_u32_e64 s14, s88, v0
	v_dual_ashrrev_i32 v31, 31, v30 :: v_dual_ashrrev_i32 v33, 31, v32
	v_cmp_lt_i32_e64 s9, -1, v74
	v_cmp_lt_i32_e64 s10, -1, v75
	s_delay_alu instid0(VALU_DEP_4)
	v_cndmask_b32_e64 v0, v54, v46, s14
	v_cmp_lt_i32_e64 s12, -1, v79
	v_cmp_lt_i32_e64 s13, -1, v80
	;; [unrolled: 1-line block ×4, first 2 shown]
	v_xor_b32_e32 v0, v0, v48
	s_and_b32 s25, s22, s9
	s_and_b32 s29, s23, s10
	;; [unrolled: 1-line block ×4, first 2 shown]
	v_sub_nc_u32_e32 v0, v0, v48
	s_and_b32 s22, s22, s15
	s_and_b32 s23, s23, s16
	;; [unrolled: 1-line block ×4, first 2 shown]
	v_or_b32_e32 v49, v0, v49
	s_and_b32 s10, s61, s20
	s_and_b32 s11, s64, s20
	;; [unrolled: 1-line block ×4, first 2 shown]
	v_or_b32_e32 v75, v49, v47
	v_or_b32_e32 v5, v0, v5
	v_dual_add_nc_u32 v48, v0, v53 :: v_dual_bitop2_b32 v55, v0, v52 bitop3:0x54
	v_mul_lo_u32 v65, v0, s46
	s_and_b32 s14, s83, s20
	s_and_b32 s15, s84, s20
	;; [unrolled: 1-line block ×3, first 2 shown]
	v_cmp_gt_i32_e64 s20, s43, v0
	v_dual_add_nc_u32 v46, v0, v50 :: v_dual_add_nc_u32 v50, v0, v51
	v_dual_add_nc_u32 v52, v0, v56 :: v_dual_add_nc_u32 v56, v0, v62
	;; [unrolled: 1-line block ×4, first 2 shown]
	v_or_b32_e32 v0, v49, v57
	v_or_b32_e32 v74, v49, v63
	v_dual_ashrrev_i32 v49, 31, v48 :: v_dual_bitop2_b32 v76, v55, v57 bitop3:0x54
	v_dual_ashrrev_i32 v51, 31, v50 :: v_dual_bitop2_b32 v77, v55, v63 bitop3:0x54
	;; [unrolled: 1-line block ×6, first 2 shown]
	s_and_b32 s103, s24, s26
	s_and_b32 s104, s25, s26
	;; [unrolled: 1-line block ×9, first 2 shown]
	v_ashrrev_i32_e32 v47, 31, v46
	s_and_b32 s68, s20, s19
	s_and_b32 s69, s20, s18
	v_cmp_lt_i32_e64 s17, -1, v75
	v_cmp_lt_i32_e64 s18, -1, v78
	;; [unrolled: 1-line block ×9, first 2 shown]
	s_and_b32 vcc_hi, s29, s26
	v_cmp_eq_u32_e64 s29, v65, v64
	v_dual_ashrrev_i32 v61, 31, v60 :: v_dual_ashrrev_i32 v63, 31, v62
	s_and_b32 s70, s67, s17
	s_and_b32 s71, s68, s18
	;; [unrolled: 1-line block ×27, first 2 shown]
	s_branch .LBB18_7
.LBB18_6:                               ;   in Loop: Header=BB18_7 Depth=2
	s_wait_xcnt 0x0
	s_or_b32 exec_lo, exec_lo, s26
	s_wait_loadcnt 0x1a
	v_dual_fma_f32 v0, v0, v5, v72 :: v_dual_add_nc_u32 v71, 1, v71
	v_add_nc_u64_e32 v[8:9], 0x6c, v[8:9]
	v_add_nc_u32_e32 v4, s59, v4
	s_delay_alu instid0(VALU_DEP_3) | instskip(NEXT) | instid1(VALU_DEP_4)
	v_cndmask_b32_e32 v0, v72, v0, vcc_lo
	v_cmp_ge_i32_e64 s26, v71, v73
	s_wait_loadcnt 0x19
	s_delay_alu instid0(VALU_DEP_2) | instskip(SKIP_1) | instid1(VALU_DEP_1)
	v_fma_f32 v5, v74, v76, v0
	s_or_b32 s93, s26, s93
	v_cndmask_b32_e64 v0, v0, v5, s8
	s_wait_loadcnt 0x18
	s_delay_alu instid0(VALU_DEP_1) | instskip(NEXT) | instid1(VALU_DEP_1)
	v_fma_f32 v5, v77, v75, v0
	v_cndmask_b32_e64 v0, v0, v5, s17
	s_wait_loadcnt 0x17
	s_delay_alu instid0(VALU_DEP_1) | instskip(NEXT) | instid1(VALU_DEP_1)
	v_fma_f32 v5, v78, v80, v0
	v_cndmask_b32_e64 v0, v0, v5, s1
	s_wait_loadcnt 0x16
	s_delay_alu instid0(VALU_DEP_1) | instskip(NEXT) | instid1(VALU_DEP_1)
	v_fma_f32 v5, v81, v79, v0
	v_cndmask_b32_e64 v0, v0, v5, s9
	s_wait_loadcnt 0x15
	s_delay_alu instid0(VALU_DEP_1) | instskip(NEXT) | instid1(VALU_DEP_1)
	v_fma_f32 v5, v82, v84, v0
	v_cndmask_b32_e64 v0, v0, v5, s18
	s_wait_loadcnt 0x14
	s_delay_alu instid0(VALU_DEP_1) | instskip(NEXT) | instid1(VALU_DEP_1)
	v_fma_f32 v5, v85, v83, v0
	v_cndmask_b32_e64 v0, v0, v5, s0
	s_wait_loadcnt 0x13
	s_delay_alu instid0(VALU_DEP_1) | instskip(NEXT) | instid1(VALU_DEP_1)
	v_fma_f32 v5, v86, v88, v0
	v_cndmask_b32_e64 v0, v0, v5, s10
	s_wait_loadcnt 0x12
	s_delay_alu instid0(VALU_DEP_1) | instskip(NEXT) | instid1(VALU_DEP_1)
	v_fma_f32 v5, v89, v87, v0
	v_cndmask_b32_e64 v0, v0, v5, s19
	s_wait_loadcnt 0x11
	s_delay_alu instid0(VALU_DEP_1) | instskip(NEXT) | instid1(VALU_DEP_1)
	v_fma_f32 v5, v90, v92, v0
	v_cndmask_b32_e64 v0, v0, v5, s5
	s_wait_loadcnt 0x10
	s_delay_alu instid0(VALU_DEP_1) | instskip(NEXT) | instid1(VALU_DEP_1)
	v_fma_f32 v5, v93, v91, v0
	v_cndmask_b32_e64 v0, v0, v5, s11
	s_wait_loadcnt 0xf
	s_delay_alu instid0(VALU_DEP_1) | instskip(NEXT) | instid1(VALU_DEP_1)
	v_fma_f32 v5, v94, v96, v0
	v_cndmask_b32_e64 v0, v0, v5, s20
	s_wait_loadcnt 0xe
	s_delay_alu instid0(VALU_DEP_1) | instskip(NEXT) | instid1(VALU_DEP_1)
	v_fma_f32 v5, v97, v95, v0
	v_cndmask_b32_e64 v0, v0, v5, s6
	s_wait_loadcnt 0xd
	s_delay_alu instid0(VALU_DEP_1) | instskip(NEXT) | instid1(VALU_DEP_1)
	v_fma_f32 v5, v98, v100, v0
	v_cndmask_b32_e64 v0, v0, v5, s12
	s_wait_loadcnt 0xc
	s_delay_alu instid0(VALU_DEP_1) | instskip(NEXT) | instid1(VALU_DEP_1)
	v_fma_f32 v5, v101, v99, v0
	v_cndmask_b32_e64 v0, v0, v5, s21
	s_wait_loadcnt 0xb
	s_delay_alu instid0(VALU_DEP_1) | instskip(NEXT) | instid1(VALU_DEP_1)
	v_fma_f32 v5, v102, v104, v0
	v_cndmask_b32_e64 v0, v0, v5, s7
	s_wait_loadcnt 0xa
	s_delay_alu instid0(VALU_DEP_1) | instskip(NEXT) | instid1(VALU_DEP_1)
	v_fma_f32 v5, v105, v103, v0
	v_cndmask_b32_e64 v0, v0, v5, s13
	s_wait_loadcnt 0x9
	s_delay_alu instid0(VALU_DEP_1) | instskip(NEXT) | instid1(VALU_DEP_1)
	v_fma_f32 v5, v106, v108, v0
	v_cndmask_b32_e64 v0, v0, v5, s22
	s_wait_loadcnt 0x8
	s_delay_alu instid0(VALU_DEP_1) | instskip(NEXT) | instid1(VALU_DEP_1)
	v_fma_f32 v5, v109, v107, v0
	v_cndmask_b32_e64 v0, v0, v5, s2
	s_wait_loadcnt 0x7
	s_delay_alu instid0(VALU_DEP_1) | instskip(NEXT) | instid1(VALU_DEP_1)
	v_fma_f32 v5, v110, v112, v0
	v_cndmask_b32_e64 v0, v0, v5, s14
	s_wait_loadcnt 0x6
	s_delay_alu instid0(VALU_DEP_1) | instskip(NEXT) | instid1(VALU_DEP_1)
	v_fma_f32 v5, v113, v111, v0
	v_cndmask_b32_e64 v0, v0, v5, s23
	s_wait_loadcnt 0x5
	s_delay_alu instid0(VALU_DEP_1) | instskip(NEXT) | instid1(VALU_DEP_1)
	v_fma_f32 v5, v114, v116, v0
	v_cndmask_b32_e64 v0, v0, v5, s3
	s_wait_loadcnt 0x4
	s_delay_alu instid0(VALU_DEP_1) | instskip(NEXT) | instid1(VALU_DEP_1)
	v_fma_f32 v5, v117, v115, v0
	v_cndmask_b32_e64 v0, v0, v5, s15
	s_wait_loadcnt 0x3
	s_delay_alu instid0(VALU_DEP_1) | instskip(NEXT) | instid1(VALU_DEP_1)
	v_fma_f32 v5, v118, v120, v0
	v_cndmask_b32_e64 v0, v0, v5, s24
	s_wait_loadcnt 0x2
	s_delay_alu instid0(VALU_DEP_1) | instskip(NEXT) | instid1(VALU_DEP_1)
	v_fma_f32 v5, v121, v119, v0
	v_cndmask_b32_e64 v0, v0, v5, s4
	s_wait_loadcnt 0x1
	s_delay_alu instid0(VALU_DEP_1) | instskip(NEXT) | instid1(VALU_DEP_1)
	v_fma_f32 v5, v123, v124, v0
	v_cndmask_b32_e64 v0, v0, v5, s16
	s_wait_loadcnt 0x0
	s_delay_alu instid0(VALU_DEP_1) | instskip(NEXT) | instid1(VALU_DEP_1)
	v_fma_f32 v5, v125, v122, v0
	v_cndmask_b32_e64 v72, v0, v5, s25
	s_and_not1_b32 exec_lo, exec_lo, s93
	s_cbranch_execz .LBB18_2
.LBB18_7:                               ;   Parent Loop BB18_4 Depth=1
                                        ; =>  This Inner Loop Header: Depth=2
	global_load_b32 v0, v[8:9], off
	v_ashrrev_i32_e32 v5, 31, v4
	s_delay_alu instid0(VALU_DEP_1)
	v_lshl_add_u64 v[64:65], v[4:5], 2, v[6:7]
	v_mov_b32_e32 v5, 0
	s_wait_xcnt 0x0
	s_and_saveexec_b32 s26, s94
	s_cbranch_execz .LBB18_9
; %bb.8:                                ;   in Loop: Header=BB18_7 Depth=2
	v_lshl_add_u64 v[74:75], v[10:11], 2, v[64:65]
	global_load_b32 v5, v[74:75], off
.LBB18_9:                               ;   in Loop: Header=BB18_7 Depth=2
	s_wait_xcnt 0x0
	s_or_b32 exec_lo, exec_lo, s26
	global_load_b32 v74, v[8:9], off offset:4
	v_dual_mov_b32 v75, 0 :: v_dual_mov_b32 v76, 0
	s_wait_xcnt 0x0
	s_and_saveexec_b32 s26, s103
	s_cbranch_execz .LBB18_11
; %bb.10:                               ;   in Loop: Header=BB18_7 Depth=2
	v_lshl_add_u64 v[76:77], v[28:29], 2, v[64:65]
	global_load_b32 v76, v[76:77], off
.LBB18_11:                              ;   in Loop: Header=BB18_7 Depth=2
	s_wait_xcnt 0x0
	s_or_b32 exec_lo, exec_lo, s26
	global_load_b32 v77, v[8:9], off offset:8
	s_wait_xcnt 0x0
	s_and_saveexec_b32 s26, s29
	s_cbranch_execz .LBB18_13
; %bb.12:                               ;   in Loop: Header=BB18_7 Depth=2
	v_lshl_add_u64 v[78:79], v[46:47], 2, v[64:65]
	global_load_b32 v75, v[78:79], off
.LBB18_13:                              ;   in Loop: Header=BB18_7 Depth=2
	s_wait_xcnt 0x0
	s_or_b32 exec_lo, exec_lo, s26
	global_load_b32 v78, v[8:9], off offset:12
	v_dual_mov_b32 v79, 0 :: v_dual_mov_b32 v80, 0
	s_wait_xcnt 0x0
	s_and_saveexec_b32 s26, s96
	s_cbranch_execz .LBB18_15
; %bb.14:                               ;   in Loop: Header=BB18_7 Depth=2
	v_lshl_add_u64 v[80:81], v[14:15], 2, v[64:65]
	global_load_b32 v80, v[80:81], off
.LBB18_15:                              ;   in Loop: Header=BB18_7 Depth=2
	s_wait_xcnt 0x0
	s_or_b32 exec_lo, exec_lo, s26
	global_load_b32 v81, v[8:9], off offset:16
	s_wait_xcnt 0x0
	s_and_saveexec_b32 s26, s104
	s_cbranch_execz .LBB18_17
; %bb.16:                               ;   in Loop: Header=BB18_7 Depth=2
	v_lshl_add_u64 v[82:83], v[30:31], 2, v[64:65]
	global_load_b32 v79, v[82:83], off
.LBB18_17:                              ;   in Loop: Header=BB18_7 Depth=2
	s_wait_xcnt 0x0
	s_or_b32 exec_lo, exec_lo, s26
	global_load_b32 v82, v[8:9], off offset:20
	v_dual_mov_b32 v83, 0 :: v_dual_mov_b32 v84, 0
	s_wait_xcnt 0x0
	s_and_saveexec_b32 s26, s61
	s_cbranch_execz .LBB18_19
; %bb.18:                               ;   in Loop: Header=BB18_7 Depth=2
	v_lshl_add_u64 v[84:85], v[48:49], 2, v[64:65]
	global_load_b32 v84, v[84:85], off
.LBB18_19:                              ;   in Loop: Header=BB18_7 Depth=2
	s_wait_xcnt 0x0
	s_or_b32 exec_lo, exec_lo, s26
	global_load_b32 v85, v[8:9], off offset:24
	s_wait_xcnt 0x0
	s_and_saveexec_b32 s26, s95
	s_cbranch_execz .LBB18_21
; %bb.20:                               ;   in Loop: Header=BB18_7 Depth=2
	v_lshl_add_u64 v[86:87], v[12:13], 2, v[64:65]
	global_load_b32 v83, v[86:87], off
.LBB18_21:                              ;   in Loop: Header=BB18_7 Depth=2
	s_wait_xcnt 0x0
	s_or_b32 exec_lo, exec_lo, s26
	global_load_b32 v86, v[8:9], off offset:28
	v_dual_mov_b32 v87, 0 :: v_dual_mov_b32 v88, 0
	s_wait_xcnt 0x0
	s_and_saveexec_b32 s26, vcc_hi
	s_cbranch_execz .LBB18_23
; %bb.22:                               ;   in Loop: Header=BB18_7 Depth=2
	v_lshl_add_u64 v[88:89], v[32:33], 2, v[64:65]
	global_load_b32 v88, v[88:89], off
.LBB18_23:                              ;   in Loop: Header=BB18_7 Depth=2
	s_wait_xcnt 0x0
	s_or_b32 exec_lo, exec_lo, s26
	global_load_b32 v89, v[8:9], off offset:32
	s_wait_xcnt 0x0
	s_and_saveexec_b32 s26, s36
	s_cbranch_execz .LBB18_25
; %bb.24:                               ;   in Loop: Header=BB18_7 Depth=2
	v_lshl_add_u64 v[90:91], v[50:51], 2, v[64:65]
	global_load_b32 v87, v[90:91], off
.LBB18_25:                              ;   in Loop: Header=BB18_7 Depth=2
	s_wait_xcnt 0x0
	s_or_b32 exec_lo, exec_lo, s26
	global_load_b32 v90, v[8:9], off offset:36
	v_dual_mov_b32 v91, 0 :: v_dual_mov_b32 v92, 0
	s_wait_xcnt 0x0
	s_and_saveexec_b32 s26, s100
	s_cbranch_execz .LBB18_27
; %bb.26:                               ;   in Loop: Header=BB18_7 Depth=2
	v_lshl_add_u64 v[92:93], v[22:23], 2, v[64:65]
	global_load_b32 v92, v[92:93], off
.LBB18_27:                              ;   in Loop: Header=BB18_7 Depth=2
	s_wait_xcnt 0x0
	s_or_b32 exec_lo, exec_lo, s26
	global_load_b32 v93, v[8:9], off offset:40
	s_wait_xcnt 0x0
	s_and_saveexec_b32 s26, s78
	s_cbranch_execz .LBB18_29
; %bb.28:                               ;   in Loop: Header=BB18_7 Depth=2
	v_lshl_add_u64 v[94:95], v[34:35], 2, v[64:65]
	global_load_b32 v91, v[94:95], off
.LBB18_29:                              ;   in Loop: Header=BB18_7 Depth=2
	s_wait_xcnt 0x0
	s_or_b32 exec_lo, exec_lo, s26
	global_load_b32 v94, v[8:9], off offset:44
	v_dual_mov_b32 v95, 0 :: v_dual_mov_b32 v96, 0
	s_wait_xcnt 0x0
	s_and_saveexec_b32 s26, s79
	;; [unrolled: 21-line block ×9, first 2 shown]
	s_cbranch_execz .LBB18_59
; %bb.58:                               ;   in Loop: Header=BB18_7 Depth=2
	v_lshl_add_u64 v[124:125], v[44:45], 2, v[64:65]
	global_load_b32 v124, v[124:125], off
.LBB18_59:                              ;   in Loop: Header=BB18_7 Depth=2
	s_wait_xcnt 0x0
	s_or_b32 exec_lo, exec_lo, s26
	global_load_b32 v125, v[8:9], off offset:104
	s_wait_xcnt 0x0
	s_and_saveexec_b32 s26, s27
	s_cbranch_execz .LBB18_6
; %bb.60:                               ;   in Loop: Header=BB18_7 Depth=2
	v_lshl_add_u64 v[64:65], v[62:63], 2, v[64:65]
	global_load_b32 v122, v[64:65], off
	s_branch .LBB18_6
.LBB18_61:                              ;   in Loop: Header=BB18_4 Depth=1
	v_mov_b32_e32 v72, 0
	s_branch .LBB18_3
.LBB18_62:
	s_sendmsg sendmsg(MSG_DEALLOC_VGPRS)
	s_endpgm
	.section	.rodata,"a",@progbits
	.p2align	6, 0x0
	.amdhsa_kernel _ZN2at6native12_GLOBAL__N_143conv_depthwise3d_cuda_backward_input_kernelIffLi3ELi3ELi3ELi1ELi1ELi1ELin1ELin1ELin1EEEvN5torch10headeronly6detail27GenericPackedTensorAccessorINS5_14TensorAccessorIN3c108ArrayRefIlEEKT_Lm4ENS4_16DefaultPtrTraitsEiEENS_6detail16IndexBoundsCheckILm5EiEESC_Lm5ESD_iEENS6_INS7_ISA_SB_Lm4ESD_iEESH_SB_Lm5ESD_iEESI_iiiiiiiii
		.amdhsa_group_segment_fixed_size 0
		.amdhsa_private_segment_fixed_size 0
		.amdhsa_kernarg_size 440
		.amdhsa_user_sgpr_count 2
		.amdhsa_user_sgpr_dispatch_ptr 0
		.amdhsa_user_sgpr_queue_ptr 0
		.amdhsa_user_sgpr_kernarg_segment_ptr 1
		.amdhsa_user_sgpr_dispatch_id 0
		.amdhsa_user_sgpr_kernarg_preload_length 0
		.amdhsa_user_sgpr_kernarg_preload_offset 0
		.amdhsa_user_sgpr_private_segment_size 0
		.amdhsa_wavefront_size32 1
		.amdhsa_uses_dynamic_stack 0
		.amdhsa_enable_private_segment 0
		.amdhsa_system_sgpr_workgroup_id_x 1
		.amdhsa_system_sgpr_workgroup_id_y 0
		.amdhsa_system_sgpr_workgroup_id_z 0
		.amdhsa_system_sgpr_workgroup_info 0
		.amdhsa_system_vgpr_workitem_id 0
		.amdhsa_next_free_vgpr 127
		.amdhsa_next_free_sgpr 105
		.amdhsa_named_barrier_count 0
		.amdhsa_reserve_vcc 1
		.amdhsa_float_round_mode_32 0
		.amdhsa_float_round_mode_16_64 0
		.amdhsa_float_denorm_mode_32 3
		.amdhsa_float_denorm_mode_16_64 3
		.amdhsa_fp16_overflow 0
		.amdhsa_memory_ordered 1
		.amdhsa_forward_progress 1
		.amdhsa_inst_pref_size 52
		.amdhsa_round_robin_scheduling 0
		.amdhsa_exception_fp_ieee_invalid_op 0
		.amdhsa_exception_fp_denorm_src 0
		.amdhsa_exception_fp_ieee_div_zero 0
		.amdhsa_exception_fp_ieee_overflow 0
		.amdhsa_exception_fp_ieee_underflow 0
		.amdhsa_exception_fp_ieee_inexact 0
		.amdhsa_exception_int_div_zero 0
	.end_amdhsa_kernel
	.section	.text._ZN2at6native12_GLOBAL__N_143conv_depthwise3d_cuda_backward_input_kernelIffLi3ELi3ELi3ELi1ELi1ELi1ELin1ELin1ELin1EEEvN5torch10headeronly6detail27GenericPackedTensorAccessorINS5_14TensorAccessorIN3c108ArrayRefIlEEKT_Lm4ENS4_16DefaultPtrTraitsEiEENS_6detail16IndexBoundsCheckILm5EiEESC_Lm5ESD_iEENS6_INS7_ISA_SB_Lm4ESD_iEESH_SB_Lm5ESD_iEESI_iiiiiiiii,"axG",@progbits,_ZN2at6native12_GLOBAL__N_143conv_depthwise3d_cuda_backward_input_kernelIffLi3ELi3ELi3ELi1ELi1ELi1ELin1ELin1ELin1EEEvN5torch10headeronly6detail27GenericPackedTensorAccessorINS5_14TensorAccessorIN3c108ArrayRefIlEEKT_Lm4ENS4_16DefaultPtrTraitsEiEENS_6detail16IndexBoundsCheckILm5EiEESC_Lm5ESD_iEENS6_INS7_ISA_SB_Lm4ESD_iEESH_SB_Lm5ESD_iEESI_iiiiiiiii,comdat
.Lfunc_end18:
	.size	_ZN2at6native12_GLOBAL__N_143conv_depthwise3d_cuda_backward_input_kernelIffLi3ELi3ELi3ELi1ELi1ELi1ELin1ELin1ELin1EEEvN5torch10headeronly6detail27GenericPackedTensorAccessorINS5_14TensorAccessorIN3c108ArrayRefIlEEKT_Lm4ENS4_16DefaultPtrTraitsEiEENS_6detail16IndexBoundsCheckILm5EiEESC_Lm5ESD_iEENS6_INS7_ISA_SB_Lm4ESD_iEESH_SB_Lm5ESD_iEESI_iiiiiiiii, .Lfunc_end18-_ZN2at6native12_GLOBAL__N_143conv_depthwise3d_cuda_backward_input_kernelIffLi3ELi3ELi3ELi1ELi1ELi1ELin1ELin1ELin1EEEvN5torch10headeronly6detail27GenericPackedTensorAccessorINS5_14TensorAccessorIN3c108ArrayRefIlEEKT_Lm4ENS4_16DefaultPtrTraitsEiEENS_6detail16IndexBoundsCheckILm5EiEESC_Lm5ESD_iEENS6_INS7_ISA_SB_Lm4ESD_iEESH_SB_Lm5ESD_iEESI_iiiiiiiii
                                        ; -- End function
	.set _ZN2at6native12_GLOBAL__N_143conv_depthwise3d_cuda_backward_input_kernelIffLi3ELi3ELi3ELi1ELi1ELi1ELin1ELin1ELin1EEEvN5torch10headeronly6detail27GenericPackedTensorAccessorINS5_14TensorAccessorIN3c108ArrayRefIlEEKT_Lm4ENS4_16DefaultPtrTraitsEiEENS_6detail16IndexBoundsCheckILm5EiEESC_Lm5ESD_iEENS6_INS7_ISA_SB_Lm4ESD_iEESH_SB_Lm5ESD_iEESI_iiiiiiiii.num_vgpr, 127
	.set _ZN2at6native12_GLOBAL__N_143conv_depthwise3d_cuda_backward_input_kernelIffLi3ELi3ELi3ELi1ELi1ELi1ELin1ELin1ELin1EEEvN5torch10headeronly6detail27GenericPackedTensorAccessorINS5_14TensorAccessorIN3c108ArrayRefIlEEKT_Lm4ENS4_16DefaultPtrTraitsEiEENS_6detail16IndexBoundsCheckILm5EiEESC_Lm5ESD_iEENS6_INS7_ISA_SB_Lm4ESD_iEESH_SB_Lm5ESD_iEESI_iiiiiiiii.num_agpr, 0
	.set _ZN2at6native12_GLOBAL__N_143conv_depthwise3d_cuda_backward_input_kernelIffLi3ELi3ELi3ELi1ELi1ELi1ELin1ELin1ELin1EEEvN5torch10headeronly6detail27GenericPackedTensorAccessorINS5_14TensorAccessorIN3c108ArrayRefIlEEKT_Lm4ENS4_16DefaultPtrTraitsEiEENS_6detail16IndexBoundsCheckILm5EiEESC_Lm5ESD_iEENS6_INS7_ISA_SB_Lm4ESD_iEESH_SB_Lm5ESD_iEESI_iiiiiiiii.numbered_sgpr, 105
	.set _ZN2at6native12_GLOBAL__N_143conv_depthwise3d_cuda_backward_input_kernelIffLi3ELi3ELi3ELi1ELi1ELi1ELin1ELin1ELin1EEEvN5torch10headeronly6detail27GenericPackedTensorAccessorINS5_14TensorAccessorIN3c108ArrayRefIlEEKT_Lm4ENS4_16DefaultPtrTraitsEiEENS_6detail16IndexBoundsCheckILm5EiEESC_Lm5ESD_iEENS6_INS7_ISA_SB_Lm4ESD_iEESH_SB_Lm5ESD_iEESI_iiiiiiiii.num_named_barrier, 0
	.set _ZN2at6native12_GLOBAL__N_143conv_depthwise3d_cuda_backward_input_kernelIffLi3ELi3ELi3ELi1ELi1ELi1ELin1ELin1ELin1EEEvN5torch10headeronly6detail27GenericPackedTensorAccessorINS5_14TensorAccessorIN3c108ArrayRefIlEEKT_Lm4ENS4_16DefaultPtrTraitsEiEENS_6detail16IndexBoundsCheckILm5EiEESC_Lm5ESD_iEENS6_INS7_ISA_SB_Lm4ESD_iEESH_SB_Lm5ESD_iEESI_iiiiiiiii.private_seg_size, 0
	.set _ZN2at6native12_GLOBAL__N_143conv_depthwise3d_cuda_backward_input_kernelIffLi3ELi3ELi3ELi1ELi1ELi1ELin1ELin1ELin1EEEvN5torch10headeronly6detail27GenericPackedTensorAccessorINS5_14TensorAccessorIN3c108ArrayRefIlEEKT_Lm4ENS4_16DefaultPtrTraitsEiEENS_6detail16IndexBoundsCheckILm5EiEESC_Lm5ESD_iEENS6_INS7_ISA_SB_Lm4ESD_iEESH_SB_Lm5ESD_iEESI_iiiiiiiii.uses_vcc, 1
	.set _ZN2at6native12_GLOBAL__N_143conv_depthwise3d_cuda_backward_input_kernelIffLi3ELi3ELi3ELi1ELi1ELi1ELin1ELin1ELin1EEEvN5torch10headeronly6detail27GenericPackedTensorAccessorINS5_14TensorAccessorIN3c108ArrayRefIlEEKT_Lm4ENS4_16DefaultPtrTraitsEiEENS_6detail16IndexBoundsCheckILm5EiEESC_Lm5ESD_iEENS6_INS7_ISA_SB_Lm4ESD_iEESH_SB_Lm5ESD_iEESI_iiiiiiiii.uses_flat_scratch, 0
	.set _ZN2at6native12_GLOBAL__N_143conv_depthwise3d_cuda_backward_input_kernelIffLi3ELi3ELi3ELi1ELi1ELi1ELin1ELin1ELin1EEEvN5torch10headeronly6detail27GenericPackedTensorAccessorINS5_14TensorAccessorIN3c108ArrayRefIlEEKT_Lm4ENS4_16DefaultPtrTraitsEiEENS_6detail16IndexBoundsCheckILm5EiEESC_Lm5ESD_iEENS6_INS7_ISA_SB_Lm4ESD_iEESH_SB_Lm5ESD_iEESI_iiiiiiiii.has_dyn_sized_stack, 0
	.set _ZN2at6native12_GLOBAL__N_143conv_depthwise3d_cuda_backward_input_kernelIffLi3ELi3ELi3ELi1ELi1ELi1ELin1ELin1ELin1EEEvN5torch10headeronly6detail27GenericPackedTensorAccessorINS5_14TensorAccessorIN3c108ArrayRefIlEEKT_Lm4ENS4_16DefaultPtrTraitsEiEENS_6detail16IndexBoundsCheckILm5EiEESC_Lm5ESD_iEENS6_INS7_ISA_SB_Lm4ESD_iEESH_SB_Lm5ESD_iEESI_iiiiiiiii.has_recursion, 0
	.set _ZN2at6native12_GLOBAL__N_143conv_depthwise3d_cuda_backward_input_kernelIffLi3ELi3ELi3ELi1ELi1ELi1ELin1ELin1ELin1EEEvN5torch10headeronly6detail27GenericPackedTensorAccessorINS5_14TensorAccessorIN3c108ArrayRefIlEEKT_Lm4ENS4_16DefaultPtrTraitsEiEENS_6detail16IndexBoundsCheckILm5EiEESC_Lm5ESD_iEENS6_INS7_ISA_SB_Lm4ESD_iEESH_SB_Lm5ESD_iEESI_iiiiiiiii.has_indirect_call, 0
	.section	.AMDGPU.csdata,"",@progbits
; Kernel info:
; codeLenInByte = 6600
; TotalNumSgprs: 107
; NumVgprs: 127
; ScratchSize: 0
; MemoryBound: 0
; FloatMode: 240
; IeeeMode: 1
; LDSByteSize: 0 bytes/workgroup (compile time only)
; SGPRBlocks: 0
; VGPRBlocks: 7
; NumSGPRsForWavesPerEU: 107
; NumVGPRsForWavesPerEU: 127
; NamedBarCnt: 0
; Occupancy: 8
; WaveLimiterHint : 0
; COMPUTE_PGM_RSRC2:SCRATCH_EN: 0
; COMPUTE_PGM_RSRC2:USER_SGPR: 2
; COMPUTE_PGM_RSRC2:TRAP_HANDLER: 0
; COMPUTE_PGM_RSRC2:TGID_X_EN: 1
; COMPUTE_PGM_RSRC2:TGID_Y_EN: 0
; COMPUTE_PGM_RSRC2:TGID_Z_EN: 0
; COMPUTE_PGM_RSRC2:TIDIG_COMP_CNT: 0
	.section	.text._ZN2at6native12_GLOBAL__N_143conv_depthwise3d_cuda_backward_input_kernelIffLi3ELi3ELi3ELin1ELin1ELin1ELi1ELi1ELi1EEEvN5torch10headeronly6detail27GenericPackedTensorAccessorINS5_14TensorAccessorIN3c108ArrayRefIlEEKT_Lm4ENS4_16DefaultPtrTraitsEiEENS_6detail16IndexBoundsCheckILm5EiEESC_Lm5ESD_iEENS6_INS7_ISA_SB_Lm4ESD_iEESH_SB_Lm5ESD_iEESI_iiiiiiiii,"axG",@progbits,_ZN2at6native12_GLOBAL__N_143conv_depthwise3d_cuda_backward_input_kernelIffLi3ELi3ELi3ELin1ELin1ELin1ELi1ELi1ELi1EEEvN5torch10headeronly6detail27GenericPackedTensorAccessorINS5_14TensorAccessorIN3c108ArrayRefIlEEKT_Lm4ENS4_16DefaultPtrTraitsEiEENS_6detail16IndexBoundsCheckILm5EiEESC_Lm5ESD_iEENS6_INS7_ISA_SB_Lm4ESD_iEESH_SB_Lm5ESD_iEESI_iiiiiiiii,comdat
	.globl	_ZN2at6native12_GLOBAL__N_143conv_depthwise3d_cuda_backward_input_kernelIffLi3ELi3ELi3ELin1ELin1ELin1ELi1ELi1ELi1EEEvN5torch10headeronly6detail27GenericPackedTensorAccessorINS5_14TensorAccessorIN3c108ArrayRefIlEEKT_Lm4ENS4_16DefaultPtrTraitsEiEENS_6detail16IndexBoundsCheckILm5EiEESC_Lm5ESD_iEENS6_INS7_ISA_SB_Lm4ESD_iEESH_SB_Lm5ESD_iEESI_iiiiiiiii ; -- Begin function _ZN2at6native12_GLOBAL__N_143conv_depthwise3d_cuda_backward_input_kernelIffLi3ELi3ELi3ELin1ELin1ELin1ELi1ELi1ELi1EEEvN5torch10headeronly6detail27GenericPackedTensorAccessorINS5_14TensorAccessorIN3c108ArrayRefIlEEKT_Lm4ENS4_16DefaultPtrTraitsEiEENS_6detail16IndexBoundsCheckILm5EiEESC_Lm5ESD_iEENS6_INS7_ISA_SB_Lm4ESD_iEESH_SB_Lm5ESD_iEESI_iiiiiiiii
	.p2align	8
	.type	_ZN2at6native12_GLOBAL__N_143conv_depthwise3d_cuda_backward_input_kernelIffLi3ELi3ELi3ELin1ELin1ELin1ELi1ELi1ELi1EEEvN5torch10headeronly6detail27GenericPackedTensorAccessorINS5_14TensorAccessorIN3c108ArrayRefIlEEKT_Lm4ENS4_16DefaultPtrTraitsEiEENS_6detail16IndexBoundsCheckILm5EiEESC_Lm5ESD_iEENS6_INS7_ISA_SB_Lm4ESD_iEESH_SB_Lm5ESD_iEESI_iiiiiiiii,@function
_ZN2at6native12_GLOBAL__N_143conv_depthwise3d_cuda_backward_input_kernelIffLi3ELi3ELi3ELin1ELin1ELin1ELi1ELi1ELi1EEEvN5torch10headeronly6detail27GenericPackedTensorAccessorINS5_14TensorAccessorIN3c108ArrayRefIlEEKT_Lm4ENS4_16DefaultPtrTraitsEiEENS_6detail16IndexBoundsCheckILm5EiEESC_Lm5ESD_iEENS6_INS7_ISA_SB_Lm4ESD_iEESH_SB_Lm5ESD_iEESI_iiiiiiiii: ; @_ZN2at6native12_GLOBAL__N_143conv_depthwise3d_cuda_backward_input_kernelIffLi3ELi3ELi3ELin1ELin1ELin1ELi1ELi1ELi1EEEvN5torch10headeronly6detail27GenericPackedTensorAccessorINS5_14TensorAccessorIN3c108ArrayRefIlEEKT_Lm4ENS4_16DefaultPtrTraitsEiEENS_6detail16IndexBoundsCheckILm5EiEESC_Lm5ESD_iEENS6_INS7_ISA_SB_Lm4ESD_iEESH_SB_Lm5ESD_iEESI_iiiiiiiii
; %bb.0:
	s_clause 0x1
	s_load_b128 s[4:7], s[0:1], 0x38
	s_load_b32 s2, s[0:1], 0xc4
	s_bfe_u32 s3, ttmp6, 0x4000c
	s_load_b64 s[20:21], s[0:1], 0x48
	s_add_co_i32 s3, s3, 1
	s_and_b32 s8, ttmp6, 15
	s_mul_i32 s3, ttmp9, s3
	s_getreg_b32 s9, hwreg(HW_REG_IB_STS2, 6, 4)
	v_mov_b32_e32 v1, 0
	s_add_co_i32 s8, s8, s3
	s_mov_b32 s25, 0
	s_wait_kmcnt 0x0
	s_abs_i32 s33, s5
	s_and_b32 s2, s2, 0xffff
	s_cmp_eq_u32 s9, 0
	s_mul_i32 s22, s21, s4
	s_cselect_b32 s3, ttmp9, s8
	s_ashr_i32 s23, s22, 31
	v_mad_nc_u64_u32 v[2:3], s2, s3, v[0:1]
	s_cvt_f32_u32 s3, s33
	s_mov_b32 s4, exec_lo
	s_delay_alu instid0(SALU_CYCLE_2) | instskip(SKIP_1) | instid1(TRANS32_DEP_1)
	v_rcp_iflag_f32_e32 v0, s3
	v_nop
	v_readfirstlane_b32 s3, v0
	s_delay_alu instid0(VALU_DEP_3)
	v_cmpx_gt_i64_e64 s[22:23], v[2:3]
	s_cbranch_execz .LBB19_62
; %bb.1:
	s_clause 0x1
	s_load_b128 s[8:11], s[0:1], 0xc
	s_load_b64 s[28:29], s[0:1], 0x0
	s_mul_f32 s3, s3, 0x4f7ffffe
	s_sub_co_i32 s4, 0, s33
	s_mov_b32 s17, s25
	s_ashr_i32 s46, s5, 31
	s_cvt_u32_f32 s3, s3
	s_add_nc_u64 s[18:19], s[0:1], 0xb8
	s_clause 0x4
	s_load_b64 s[26:27], s[0:1], 0xac
	s_load_b128 s[12:15], s[0:1], 0x9c
	s_load_b32 s47, s[0:1], 0x7c
	s_load_b64 s[30:31], s[0:1], 0x1c
	s_load_b64 s[34:35], s[0:1], 0x30
	s_mul_i32 s16, s4, s3
	s_load_b32 s38, s[18:19], 0x0
	s_mul_hi_u32 s16, s3, s16
	s_mov_b32 s41, s25
	s_add_co_i32 s16, s3, s16
	v_readfirstlane_b32 s3, v0
	s_mov_b32 s43, s25
	s_mov_b32 s45, s25
	;; [unrolled: 1-line block ×3, first 2 shown]
	s_wait_kmcnt 0x0
	s_abs_i32 s24, s8
	s_ashr_i32 s8, s8, 31
	s_mul_u64 s[16:17], s[24:25], s[16:17]
	s_xor_b32 s8, s8, s46
	s_mul_i32 s16, s17, s33
	s_delay_alu instid0(SALU_CYCLE_1)
	s_sub_co_i32 s16, s24, s16
	s_add_co_i32 s24, s17, 1
	s_sub_co_i32 s36, s16, s33
	s_cmp_ge_u32 s16, s33
	s_cselect_b32 s24, s24, s17
	s_cselect_b32 s16, s36, s16
	s_add_co_i32 s39, s24, 1
	s_cmp_ge_u32 s16, s33
	s_clause 0x1
	s_load_b64 s[36:37], s[0:1], 0x60
	s_load_b128 s[16:19], s[0:1], 0x50
	s_wait_xcnt 0x0
	s_cselect_b32 s0, s39, s24
	s_mul_f32 s1, s3, 0x4f7ffffe
	s_xor_b32 s0, s0, s8
	s_mul_i32 s24, s38, s2
	s_sub_co_i32 s8, s0, s8
	s_cvt_u32_f32 s0, s1
	s_cmp_gt_i32 s8, 0
	s_mov_b32 s39, s25
	s_cselect_b32 s48, -1, 0
	s_abs_i32 s49, s20
	s_abs_i32 s51, s6
	s_cvt_f32_u32 s1, s49
	s_abs_i32 s50, s7
	s_cvt_f32_u32 s2, s51
	s_cvt_f32_u32 s3, s50
	v_rcp_iflag_f32_e32 v0, s1
	s_sub_co_i32 s38, 0, s49
	v_rcp_iflag_f32_e32 v5, s2
	v_rcp_iflag_f32_e32 v4, s3
	s_sub_co_i32 s42, 0, s51
	s_sub_co_i32 s40, 0, s50
	s_mul_i32 s4, s4, s0
	v_readfirstlane_b32 s1, v0
	s_lshl_b32 s52, s27, 1
	v_readfirstlane_b32 s3, v5
	v_readfirstlane_b32 s2, v4
	s_lshl_b32 s53, s26, 1
	s_mul_f32 s1, s1, 0x4f7ffffe
	s_lshl_b32 s54, s15, 1
	s_mul_f32 s3, s3, 0x4f7ffffe
	s_mul_f32 s2, s2, 0x4f7ffffe
	s_cvt_u32_f32 s1, s1
	s_ashr_i32 s55, s20, 31
	s_cvt_u32_f32 s3, s3
	s_cvt_u32_f32 s2, s2
	s_mul_i32 s38, s38, s1
	s_ashr_i32 s56, s7, 31
	s_mul_hi_u32 s38, s1, s38
	s_mul_i32 s42, s42, s3
	s_mul_i32 s40, s40, s2
	s_add_co_i32 s38, s1, s38
	s_mul_hi_u32 s1, s3, s42
	s_mul_hi_u32 s40, s2, s40
	s_add_co_i32 s42, s3, s1
	s_mul_hi_u32 s1, s0, s4
	s_add_co_i32 s40, s2, s40
	s_ashr_i32 s57, s6, 31
	s_add_co_i32 s44, s0, s1
	s_mul_i32 s58, s31, s8
	s_branch .LBB19_4
.LBB19_2:                               ;   in Loop: Header=BB19_4 Depth=1
	s_or_b32 exec_lo, exec_lo, s0
.LBB19_3:                               ;   in Loop: Header=BB19_4 Depth=1
	v_mul_lo_u32 v4, v68, s21
	s_wait_kmcnt 0x0
	v_mul_lo_u32 v6, s16, v69
	v_mul_lo_u32 v8, s17, v67
	;; [unrolled: 1-line block ×4, first 2 shown]
	v_add_nc_u64_e32 v[2:3], s[24:25], v[2:3]
	v_dual_ashrrev_i32 v5, 31, v4 :: v_dual_ashrrev_i32 v7, 31, v6
	s_delay_alu instid0(VALU_DEP_4) | instskip(NEXT) | instid1(VALU_DEP_4)
	v_dual_ashrrev_i32 v9, 31, v8 :: v_dual_ashrrev_i32 v11, 31, v10
	v_ashrrev_i32_e32 v13, 31, v12
	s_delay_alu instid0(VALU_DEP_3) | instskip(SKIP_1) | instid1(VALU_DEP_2)
	v_lshl_add_u64 v[4:5], v[4:5], 2, s[34:35]
	v_cmp_le_i64_e32 vcc_lo, s[22:23], v[2:3]
	v_lshl_add_u64 v[4:5], v[6:7], 2, v[4:5]
	s_or_b32 s59, vcc_lo, s59
	s_delay_alu instid0(VALU_DEP_1) | instskip(NEXT) | instid1(VALU_DEP_1)
	v_lshl_add_u64 v[4:5], v[8:9], 2, v[4:5]
	v_lshl_add_u64 v[4:5], v[10:11], 2, v[4:5]
	s_delay_alu instid0(VALU_DEP_1)
	v_lshl_add_u64 v[4:5], v[12:13], 2, v[4:5]
	global_store_b32 v[4:5], v71, off
	s_wait_xcnt 0x0
	s_and_not1_b32 exec_lo, exec_lo, s59
	s_cbranch_execz .LBB19_62
.LBB19_4:                               ; =>This Loop Header: Depth=1
                                        ;     Child Loop BB19_7 Depth 2
	v_sub_nc_u32_e32 v0, 0, v2
	s_delay_alu instid0(VALU_DEP_1) | instskip(NEXT) | instid1(VALU_DEP_1)
	v_max_i32_e32 v0, v2, v0
	v_mul_u64_e32 v[4:5], s[38:39], v[0:1]
	s_delay_alu instid0(VALU_DEP_1) | instskip(NEXT) | instid1(VALU_DEP_1)
	v_mul_lo_u32 v4, v5, s49
	v_dual_sub_nc_u32 v0, v0, v4 :: v_dual_add_nc_u32 v4, 1, v5
	s_delay_alu instid0(VALU_DEP_1) | instskip(NEXT) | instid1(VALU_DEP_2)
	v_cmp_le_u32_e32 vcc_lo, s49, v0
	v_cndmask_b32_e32 v4, v5, v4, vcc_lo
	v_subrev_nc_u32_e32 v6, s49, v0
	v_ashrrev_i32_e32 v5, 31, v2
	s_delay_alu instid0(VALU_DEP_2) | instskip(NEXT) | instid1(VALU_DEP_1)
	v_dual_cndmask_b32 v0, v0, v6, vcc_lo :: v_dual_add_nc_u32 v6, 1, v4
	v_cmp_le_u32_e32 vcc_lo, s49, v0
	s_delay_alu instid0(VALU_DEP_2) | instskip(NEXT) | instid1(VALU_DEP_1)
	v_dual_cndmask_b32 v0, v4, v6, vcc_lo :: v_dual_bitop2_b32 v5, s55, v5 bitop3:0x14
	v_xor_b32_e32 v0, v0, v5
	s_delay_alu instid0(VALU_DEP_1) | instskip(NEXT) | instid1(VALU_DEP_1)
	v_sub_nc_u32_e32 v6, v0, v5
	v_sub_nc_u32_e32 v0, 0, v6
	s_delay_alu instid0(VALU_DEP_1) | instskip(NEXT) | instid1(VALU_DEP_1)
	v_max_i32_e32 v0, v6, v0
	v_mul_u64_e32 v[4:5], s[40:41], v[0:1]
	s_delay_alu instid0(VALU_DEP_1) | instskip(NEXT) | instid1(VALU_DEP_1)
	v_mul_lo_u32 v4, v5, s50
	v_dual_sub_nc_u32 v0, v0, v4 :: v_dual_add_nc_u32 v4, 1, v5
	s_delay_alu instid0(VALU_DEP_1) | instskip(SKIP_1) | instid1(VALU_DEP_2)
	v_subrev_nc_u32_e32 v7, s50, v0
	v_cmp_le_u32_e32 vcc_lo, s50, v0
	v_dual_cndmask_b32 v4, v5, v4, vcc_lo :: v_dual_cndmask_b32 v0, v0, v7, vcc_lo
	s_delay_alu instid0(VALU_DEP_1) | instskip(NEXT) | instid1(VALU_DEP_2)
	v_dual_ashrrev_i32 v5, 31, v6 :: v_dual_add_nc_u32 v7, 1, v4
	v_cmp_le_u32_e32 vcc_lo, s50, v0
	s_delay_alu instid0(VALU_DEP_2) | instskip(NEXT) | instid1(VALU_DEP_1)
	v_dual_cndmask_b32 v0, v4, v7, vcc_lo :: v_dual_bitop2_b32 v5, s56, v5 bitop3:0x14
	v_xor_b32_e32 v0, v0, v5
	s_delay_alu instid0(VALU_DEP_1) | instskip(NEXT) | instid1(VALU_DEP_1)
	v_sub_nc_u32_e32 v7, v0, v5
	v_sub_nc_u32_e32 v0, 0, v7
	s_delay_alu instid0(VALU_DEP_1) | instskip(NEXT) | instid1(VALU_DEP_1)
	v_max_i32_e32 v0, v7, v0
	v_mul_u64_e32 v[4:5], s[42:43], v[0:1]
	s_delay_alu instid0(VALU_DEP_1) | instskip(NEXT) | instid1(VALU_DEP_1)
	v_mul_lo_u32 v4, v5, s51
	v_dual_sub_nc_u32 v0, v0, v4 :: v_dual_add_nc_u32 v4, 1, v5
	s_delay_alu instid0(VALU_DEP_1) | instskip(SKIP_1) | instid1(VALU_DEP_3)
	v_subrev_nc_u32_e32 v8, s51, v0
	v_cmp_le_u32_e32 vcc_lo, s51, v0
	v_dual_cndmask_b32 v4, v5, v4 :: v_dual_ashrrev_i32 v5, 31, v7
	s_delay_alu instid0(VALU_DEP_1) | instskip(NEXT) | instid1(VALU_DEP_2)
	v_dual_cndmask_b32 v0, v0, v8, vcc_lo :: v_dual_bitop2_b32 v5, s57, v5 bitop3:0x14
	v_add_nc_u32_e32 v8, 1, v4
	s_delay_alu instid0(VALU_DEP_2) | instskip(NEXT) | instid1(VALU_DEP_2)
	v_cmp_le_u32_e32 vcc_lo, s51, v0
	v_cndmask_b32_e32 v0, v4, v8, vcc_lo
	s_delay_alu instid0(VALU_DEP_1) | instskip(NEXT) | instid1(VALU_DEP_1)
	v_xor_b32_e32 v0, v0, v5
	v_sub_nc_u32_e32 v8, v0, v5
	s_delay_alu instid0(VALU_DEP_1) | instskip(NEXT) | instid1(VALU_DEP_1)
	v_sub_nc_u32_e32 v0, 0, v8
	v_max_i32_e32 v0, v8, v0
	s_delay_alu instid0(VALU_DEP_1) | instskip(NEXT) | instid1(VALU_DEP_1)
	v_mul_u64_e32 v[4:5], s[44:45], v[0:1]
	v_mul_lo_u32 v4, v5, s33
	s_delay_alu instid0(VALU_DEP_1) | instskip(NEXT) | instid1(VALU_DEP_1)
	v_dual_sub_nc_u32 v0, v0, v4 :: v_dual_add_nc_u32 v4, 1, v5
	v_subrev_nc_u32_e32 v9, s33, v0
	v_cmp_le_u32_e32 vcc_lo, s33, v0
	s_delay_alu instid0(VALU_DEP_2) | instskip(SKIP_1) | instid1(VALU_DEP_2)
	v_dual_cndmask_b32 v4, v5, v4, vcc_lo :: v_dual_cndmask_b32 v0, v0, v9, vcc_lo
	v_ashrrev_i32_e32 v5, 31, v8
	v_add_nc_u32_e32 v9, 1, v4
	s_delay_alu instid0(VALU_DEP_3) | instskip(NEXT) | instid1(VALU_DEP_3)
	v_cmp_le_u32_e32 vcc_lo, s33, v0
	v_xor_b32_e32 v5, s46, v5
	s_delay_alu instid0(VALU_DEP_3) | instskip(SKIP_2) | instid1(VALU_DEP_1)
	v_cndmask_b32_e32 v0, v4, v9, vcc_lo
	v_mul_lo_u32 v4, v7, s7
	s_and_not1_b32 vcc_lo, exec_lo, s48
	v_dual_sub_nc_u32 v66, v6, v4 :: v_dual_bitop2_b32 v0, v0, v5 bitop3:0x14
	s_delay_alu instid0(VALU_DEP_1) | instskip(SKIP_2) | instid1(VALU_DEP_2)
	v_sub_nc_u32_e32 v68, v0, v5
	v_mul_lo_u32 v0, v6, s20
	v_mul_lo_u32 v5, v8, s6
	v_sub_nc_u32_e32 v0, v2, v0
	s_delay_alu instid0(VALU_DEP_4) | instskip(NEXT) | instid1(VALU_DEP_3)
	v_mul_lo_u32 v9, v68, s5
	v_sub_nc_u32_e32 v67, v7, v5
	s_delay_alu instid0(VALU_DEP_2)
	v_sub_nc_u32_e32 v69, v8, v9
	s_cbranch_vccnz .LBB19_61
; %bb.5:                                ;   in Loop: Header=BB19_4 Depth=1
	s_delay_alu instid0(VALU_DEP_2) | instskip(NEXT) | instid1(VALU_DEP_2)
	v_dual_add_nc_u32 v23, s12, v67 :: v_dual_add_nc_u32 v40, s13, v66
	v_mul_lo_u32 v70, v69, s8
	v_mul_lo_u32 v6, s30, v68
	;; [unrolled: 1-line block ×3, first 2 shown]
	s_delay_alu instid0(VALU_DEP_4)
	v_mul_lo_u32 v18, v23, s10
	v_add_nc_u32_e32 v55, s14, v0
	v_subrev_nc_u32_e32 v41, s54, v23
	v_subrev_nc_u32_e32 v25, s15, v23
	;; [unrolled: 1-line block ×4, first 2 shown]
	v_cmp_gt_i32_e64 s0, s10, v40
	v_cmp_gt_i32_e32 vcc_lo, s9, v23
	v_mul_lo_u32 v8, s47, v70
	v_mul_lo_u32 v34, v25, s10
	;; [unrolled: 1-line block ×3, first 2 shown]
	v_dual_add_nc_u32 v5, v40, v18 :: v_dual_bitop2_b32 v4, v55, v40 bitop3:0x54
	v_ashrrev_i32_e32 v7, 31, v6
	v_subrev_nc_u32_e32 v58, s27, v55
	v_cmp_gt_i32_e64 s1, s11, v55
	s_delay_alu instid0(VALU_DEP_4)
	v_mul_lo_u32 v12, v5, s11
	v_or_b32_e32 v42, v4, v41
	v_or_b32_e32 v24, v4, v25
	v_or_b32_e32 v4, v4, v23
	v_or_b32_e32 v11, v58, v40
	v_dual_add_nc_u32 v16, v44, v18 :: v_dual_bitop2_b32 v15, v55, v44 bitop3:0x54
	v_subrev_nc_u32_e32 v59, s52, v55
	s_delay_alu instid0(VALU_DEP_4)
	v_cmp_lt_i32_e64 s3, -1, v4
	v_add_nc_u32_e32 v18, v48, v18
	s_and_b32 s78, s1, s0
	v_add_nc_u32_e32 v4, v55, v12
	v_or_b32_e32 v10, v11, v23
	v_cmp_gt_i32_e64 s2, s11, v58
	s_and_b32 s3, s78, s3
	v_mul_lo_u32 v31, v18, s11
	v_or_b32_e32 v13, v59, v40
	s_and_b32 s60, s3, vcc_lo
	v_ashrrev_i32_e32 v5, 31, v4
	v_cmp_lt_i32_e64 s3, -1, v10
	v_mul_lo_u32 v20, v16, s11
	s_and_b32 s79, s2, s0
	v_dual_add_nc_u32 v10, v58, v12 :: v_dual_bitop2_b32 v14, v13, v23 bitop3:0x54
	s_and_b32 s3, s79, s3
	v_add_nc_u32_e32 v12, v59, v12
	s_and_b32 s61, s3, vcc_lo
	v_cmp_gt_i32_e64 s3, s11, v59
	v_cmp_lt_i32_e64 s4, -1, v14
	v_or_b32_e32 v14, v15, v23
	v_or_b32_e32 v21, v55, v48
	;; [unrolled: 1-line block ×3, first 2 shown]
	s_and_b32 s80, s3, s0
	v_dual_ashrrev_i32 v11, 31, v10 :: v_dual_bitop2_b32 v27, v11, v25 bitop3:0x54
	v_or_b32_e32 v19, v59, v44
	v_add_nc_u32_e32 v18, v59, v20
	v_or_b32_e32 v17, v58, v44
	s_and_b32 s4, s80, s4
	v_cmp_gt_i32_e64 s0, s10, v44
	s_and_b32 s62, s4, vcc_lo
	v_cmp_lt_i32_e64 s4, -1, v14
	v_or_b32_e32 v22, v19, v23
	v_or_b32_e32 v49, v19, v41
	v_dual_ashrrev_i32 v19, 31, v18 :: v_dual_bitop2_b32 v33, v19, v25 bitop3:0x54
	v_dual_add_nc_u32 v14, v55, v20 :: v_dual_bitop2_b32 v16, v17, v23 bitop3:0x54
	s_and_b32 s81, s1, s0
	v_or_b32_e32 v26, v58, v48
	s_and_b32 s4, s81, s4
	s_and_b32 s82, s2, s0
	s_and_b32 s63, s4, vcc_lo
	v_cmp_lt_i32_e64 s4, -1, v16
	s_and_b32 s83, s3, s0
	v_cmp_gt_i32_e64 s0, s10, v48
	v_or_b32_e32 v30, v15, v25
	v_or_b32_e32 v47, v17, v41
	s_and_b32 s4, s82, s4
	v_dual_add_nc_u32 v37, v40, v34 :: v_dual_bitop2_b32 v28, v59, v48 bitop3:0x54
	s_and_b32 s64, s4, vcc_lo
	v_cmp_lt_i32_e64 s4, -1, v22
	s_and_b32 s84, s1, s0
	s_and_b32 s85, s2, s0
	;; [unrolled: 1-line block ×3, first 2 shown]
	v_cmp_lt_i32_e64 s0, -1, v24
	v_add_nc_u32_e32 v24, v59, v31
	v_dual_ashrrev_i32 v15, 31, v14 :: v_dual_bitop2_b32 v46, v15, v41 bitop3:0x54
	v_or_b32_e32 v22, v26, v23
	v_dual_add_nc_u32 v16, v58, v20 :: v_dual_bitop2_b32 v20, v21, v23 bitop3:0x54
	v_or_b32_e32 v35, v28, v23
	s_and_b32 s4, s83, s4
	s_delay_alu instid0(VALU_DEP_3)
	v_cmp_lt_i32_e64 s1, -1, v22
	s_and_b32 s65, s4, vcc_lo
	v_cmp_lt_i32_e64 s4, -1, v20
	v_dual_add_nc_u32 v20, v55, v31 :: v_dual_add_nc_u32 v22, v58, v31
	s_and_b32 s1, s85, s1
	v_or_b32_e32 v29, v13, v25
	s_and_b32 s67, s1, vcc_lo
	v_cmp_lt_i32_e64 s1, -1, v35
	v_mul_lo_u32 v35, v37, s11
	s_and_b32 s4, s84, s4
	v_add_nc_u32_e32 v31, v44, v34
	s_and_b32 s66, s4, vcc_lo
	s_and_b32 s1, s86, s1
	s_and_b32 s0, s78, s0
	s_and_b32 s68, s1, vcc_lo
	v_cmp_gt_i32_e32 vcc_lo, s9, v25
	v_cmp_lt_i32_e64 s1, -1, v27
	v_or_b32_e32 v32, v17, v25
	v_or_b32_e32 v50, v21, v41
	;; [unrolled: 1-line block ×4, first 2 shown]
	s_and_b32 s69, s0, vcc_lo
	s_and_b32 s0, s79, s1
	v_mul_lo_u32 v39, v31, s11
	v_or_b32_e32 v51, v26, v41
	v_or_b32_e32 v53, v28, v41
	v_dual_add_nc_u32 v26, v55, v35 :: v_dual_bitop2_b32 v37, v28, v25 bitop3:0x54
	v_add_nc_u32_e32 v28, v58, v35
	v_cmp_lt_i32_e64 s1, -1, v30
	v_dual_add_nc_u32 v30, v59, v35 :: v_dual_add_nc_u32 v35, v48, v34
	s_and_b32 s70, s0, vcc_lo
	v_cmp_lt_i32_e64 s0, -1, v29
	v_dual_ashrrev_i32 v29, 31, v28 :: v_dual_add_nc_u32 v34, v58, v39
	s_delay_alu instid0(VALU_DEP_3)
	v_mul_lo_u32 v52, v35, s11
	v_add_nc_u32_e32 v56, v40, v54
	s_and_b32 s0, s80, s0
	v_ashrrev_i32_e32 v9, 31, v8
	s_and_b32 s71, s0, vcc_lo
	s_and_b32 s0, s81, s1
	v_cmp_lt_i32_e64 s1, -1, v33
	s_and_b32 s72, s0, vcc_lo
	v_cmp_lt_i32_e64 s0, -1, v32
	v_ashrrev_i32_e32 v35, 31, v34
	v_mul_lo_u32 v56, v56, s11
	s_and_b32 s3, s83, s1
	v_cmp_lt_i32_e64 s1, -1, v38
	s_and_b32 s0, s82, s0
	v_add_nc_u32_e32 v38, v55, v52
	s_and_b32 s73, s0, vcc_lo
	v_cmp_lt_i32_e64 s0, -1, v36
	v_add_nc_u32_e32 v36, v59, v39
	v_cmp_lt_i32_e64 s2, -1, v37
	v_dual_ashrrev_i32 v17, 31, v16 :: v_dual_bitop2_b32 v45, v13, v41 bitop3:0x54
	s_and_b32 s0, s84, s0
	v_ashrrev_i32_e32 v25, 31, v24
	s_and_b32 s75, s0, vcc_lo
	s_and_b32 s0, s85, s1
	v_cmp_lt_i32_e64 s1, -1, v42
	s_and_b32 s76, s0, vcc_lo
	v_cmp_gt_i32_e64 s0, s9, v41
	s_and_b32 s2, s86, s2
	s_and_b32 s74, s3, vcc_lo
	s_and_b32 s1, s78, s1
	s_and_b32 s77, s2, vcc_lo
	s_and_b32 s78, s1, s0
	v_cmp_lt_i32_e32 vcc_lo, -1, v45
	v_dual_add_nc_u32 v45, v44, v54 :: v_dual_add_nc_u32 v44, v55, v56
	v_cmp_lt_i32_e64 s1, -1, v46
	v_cmp_lt_i32_e64 s4, -1, v49
	v_dual_add_nc_u32 v46, v58, v56 :: v_dual_add_nc_u32 v49, v48, v54
	s_delay_alu instid0(VALU_DEP_4)
	v_mul_lo_u32 v57, v45, s11
	v_ashrrev_i32_e32 v13, 31, v12
	v_cmp_lt_i32_e64 s3, -1, v43
	v_cmp_lt_i32_e64 s2, -1, v47
	v_mul_lo_u32 v60, v49, s11
	s_and_b32 s1, s81, s1
	v_add_nc_u32_e32 v32, v55, v39
	s_and_b32 s3, s79, s3
	s_and_b32 s81, s1, s0
	;; [unrolled: 1-line block ×3, first 2 shown]
	s_and_b32 s3, s80, vcc_lo
	s_and_b32 s1, s82, s2
	v_dual_add_nc_u32 v40, v58, v52 :: v_dual_add_nc_u32 v42, v59, v52
	v_cmp_lt_i32_e32 vcc_lo, -1, v50
	v_add_nc_u32_e32 v50, v55, v57
	v_dual_add_nc_u32 v48, v59, v56 :: v_dual_add_nc_u32 v52, v58, v57
	v_add_nc_u32_e32 v54, v59, v57
	v_dual_add_nc_u32 v56, v55, v60 :: v_dual_add_nc_u32 v58, v58, v60
	v_dual_add_nc_u32 v60, v59, v60 :: v_dual_add_nc_u32 v72, s8, v70
	s_and_b32 s80, s3, s0
	v_cmp_lt_i32_e64 s3, -1, v51
	s_and_b32 s2, s1, s0
	v_cmp_lt_i32_e64 s1, -1, v53
	v_lshl_add_u64 v[6:7], v[6:7], 2, s[28:29]
	s_wait_kmcnt 0x0
	v_lshl_add_u64 v[8:9], v[8:9], 2, s[36:37]
	v_dual_ashrrev_i32 v21, 31, v20 :: v_dual_ashrrev_i32 v23, 31, v22
	v_ashrrev_i32_e32 v27, 31, v26
	v_dual_ashrrev_i32 v31, 31, v30 :: v_dual_ashrrev_i32 v33, 31, v32
	v_dual_ashrrev_i32 v37, 31, v36 :: v_dual_ashrrev_i32 v39, 31, v38
	;; [unrolled: 1-line block ×7, first 2 shown]
	v_dual_ashrrev_i32 v61, 31, v60 :: v_dual_mov_b32 v71, 0
	s_and_b32 s4, s83, s4
	s_and_b32 s82, s84, vcc_lo
	s_and_b32 s3, s85, s3
	s_and_b32 s83, s86, s1
	;; [unrolled: 1-line block ×6, first 2 shown]
	s_mov_b32 s0, 0
	s_branch .LBB19_7
.LBB19_6:                               ;   in Loop: Header=BB19_7 Depth=2
	s_wait_xcnt 0x0
	s_or_b32 exec_lo, exec_lo, s83
	s_wait_loadcnt 0x1a
	v_dual_fmac_f32 v71, v73, v63 :: v_dual_add_nc_u32 v70, 1, v70
	v_add_nc_u64_e32 v[8:9], 0x6c, v[8:9]
	s_wait_loadcnt 0x19
	s_delay_alu instid0(VALU_DEP_2) | instskip(NEXT) | instid1(VALU_DEP_3)
	v_dual_fmac_f32 v71, v74, v76 :: v_dual_add_nc_u32 v62, s31, v62
	v_cmp_ge_i32_e32 vcc_lo, v70, v72
	s_wait_loadcnt 0x18
	s_delay_alu instid0(VALU_DEP_2) | instskip(SKIP_2) | instid1(VALU_DEP_1)
	v_fmac_f32_e32 v71, v77, v75
	s_or_b32 s0, vcc_lo, s0
	s_wait_loadcnt 0x17
	v_fmac_f32_e32 v71, v78, v80
	s_wait_loadcnt 0x16
	s_delay_alu instid0(VALU_DEP_1) | instskip(SKIP_1) | instid1(VALU_DEP_1)
	v_fmac_f32_e32 v71, v81, v79
	s_wait_loadcnt 0x15
	v_fmac_f32_e32 v71, v82, v84
	s_wait_loadcnt 0x14
	s_delay_alu instid0(VALU_DEP_1) | instskip(SKIP_1) | instid1(VALU_DEP_1)
	v_fmac_f32_e32 v71, v85, v83
	;; [unrolled: 5-line block ×11, first 2 shown]
	s_wait_loadcnt 0x1
	v_fmac_f32_e32 v71, v123, v124
	s_wait_loadcnt 0x0
	s_delay_alu instid0(VALU_DEP_1)
	v_fmac_f32_e32 v71, v125, v122
	s_and_not1_b32 exec_lo, exec_lo, s0
	s_cbranch_execz .LBB19_2
.LBB19_7:                               ;   Parent Loop BB19_4 Depth=1
                                        ; =>  This Inner Loop Header: Depth=2
	global_load_b32 v73, v[8:9], off
	v_ashrrev_i32_e32 v63, 31, v62
	s_delay_alu instid0(VALU_DEP_1)
	v_lshl_add_u64 v[64:65], v[62:63], 2, v[6:7]
	v_mov_b32_e32 v63, 0
	s_wait_xcnt 0x0
	s_and_saveexec_b32 s83, s60
	s_cbranch_execz .LBB19_9
; %bb.8:                                ;   in Loop: Header=BB19_7 Depth=2
	v_lshl_add_u64 v[74:75], v[4:5], 2, v[64:65]
	global_load_b32 v63, v[74:75], off
.LBB19_9:                               ;   in Loop: Header=BB19_7 Depth=2
	s_wait_xcnt 0x0
	s_or_b32 exec_lo, exec_lo, s83
	global_load_b32 v74, v[8:9], off offset:4
	v_dual_mov_b32 v75, 0 :: v_dual_mov_b32 v76, 0
	s_wait_xcnt 0x0
	s_and_saveexec_b32 s83, s61
	s_cbranch_execz .LBB19_11
; %bb.10:                               ;   in Loop: Header=BB19_7 Depth=2
	v_lshl_add_u64 v[76:77], v[10:11], 2, v[64:65]
	global_load_b32 v76, v[76:77], off
.LBB19_11:                              ;   in Loop: Header=BB19_7 Depth=2
	s_wait_xcnt 0x0
	s_or_b32 exec_lo, exec_lo, s83
	global_load_b32 v77, v[8:9], off offset:8
	s_wait_xcnt 0x0
	s_and_saveexec_b32 s83, s62
	s_cbranch_execz .LBB19_13
; %bb.12:                               ;   in Loop: Header=BB19_7 Depth=2
	v_lshl_add_u64 v[78:79], v[12:13], 2, v[64:65]
	global_load_b32 v75, v[78:79], off
.LBB19_13:                              ;   in Loop: Header=BB19_7 Depth=2
	s_wait_xcnt 0x0
	s_or_b32 exec_lo, exec_lo, s83
	global_load_b32 v78, v[8:9], off offset:12
	v_dual_mov_b32 v79, 0 :: v_dual_mov_b32 v80, 0
	s_wait_xcnt 0x0
	s_and_saveexec_b32 s83, s63
	s_cbranch_execz .LBB19_15
; %bb.14:                               ;   in Loop: Header=BB19_7 Depth=2
	v_lshl_add_u64 v[80:81], v[14:15], 2, v[64:65]
	global_load_b32 v80, v[80:81], off
.LBB19_15:                              ;   in Loop: Header=BB19_7 Depth=2
	s_wait_xcnt 0x0
	s_or_b32 exec_lo, exec_lo, s83
	global_load_b32 v81, v[8:9], off offset:16
	s_wait_xcnt 0x0
	s_and_saveexec_b32 s83, s64
	s_cbranch_execz .LBB19_17
; %bb.16:                               ;   in Loop: Header=BB19_7 Depth=2
	v_lshl_add_u64 v[82:83], v[16:17], 2, v[64:65]
	global_load_b32 v79, v[82:83], off
.LBB19_17:                              ;   in Loop: Header=BB19_7 Depth=2
	;; [unrolled: 21-line block ×12, first 2 shown]
	s_wait_xcnt 0x0
	s_or_b32 exec_lo, exec_lo, s83
	global_load_b32 v123, v[8:9], off offset:100
	v_dual_mov_b32 v122, 0 :: v_dual_mov_b32 v124, 0
	s_wait_xcnt 0x0
	s_and_saveexec_b32 s83, s1
	s_cbranch_execz .LBB19_59
; %bb.58:                               ;   in Loop: Header=BB19_7 Depth=2
	v_lshl_add_u64 v[124:125], v[58:59], 2, v[64:65]
	global_load_b32 v124, v[124:125], off
.LBB19_59:                              ;   in Loop: Header=BB19_7 Depth=2
	s_wait_xcnt 0x0
	s_or_b32 exec_lo, exec_lo, s83
	global_load_b32 v125, v[8:9], off offset:104
	s_wait_xcnt 0x0
	s_and_saveexec_b32 s83, s3
	s_cbranch_execz .LBB19_6
; %bb.60:                               ;   in Loop: Header=BB19_7 Depth=2
	v_lshl_add_u64 v[64:65], v[60:61], 2, v[64:65]
	global_load_b32 v122, v[64:65], off
	s_branch .LBB19_6
.LBB19_61:                              ;   in Loop: Header=BB19_4 Depth=1
	v_mov_b32_e32 v71, 0
	s_branch .LBB19_3
.LBB19_62:
	s_sendmsg sendmsg(MSG_DEALLOC_VGPRS)
	s_endpgm
	.section	.rodata,"a",@progbits
	.p2align	6, 0x0
	.amdhsa_kernel _ZN2at6native12_GLOBAL__N_143conv_depthwise3d_cuda_backward_input_kernelIffLi3ELi3ELi3ELin1ELin1ELin1ELi1ELi1ELi1EEEvN5torch10headeronly6detail27GenericPackedTensorAccessorINS5_14TensorAccessorIN3c108ArrayRefIlEEKT_Lm4ENS4_16DefaultPtrTraitsEiEENS_6detail16IndexBoundsCheckILm5EiEESC_Lm5ESD_iEENS6_INS7_ISA_SB_Lm4ESD_iEESH_SB_Lm5ESD_iEESI_iiiiiiiii
		.amdhsa_group_segment_fixed_size 0
		.amdhsa_private_segment_fixed_size 0
		.amdhsa_kernarg_size 440
		.amdhsa_user_sgpr_count 2
		.amdhsa_user_sgpr_dispatch_ptr 0
		.amdhsa_user_sgpr_queue_ptr 0
		.amdhsa_user_sgpr_kernarg_segment_ptr 1
		.amdhsa_user_sgpr_dispatch_id 0
		.amdhsa_user_sgpr_kernarg_preload_length 0
		.amdhsa_user_sgpr_kernarg_preload_offset 0
		.amdhsa_user_sgpr_private_segment_size 0
		.amdhsa_wavefront_size32 1
		.amdhsa_uses_dynamic_stack 0
		.amdhsa_enable_private_segment 0
		.amdhsa_system_sgpr_workgroup_id_x 1
		.amdhsa_system_sgpr_workgroup_id_y 0
		.amdhsa_system_sgpr_workgroup_id_z 0
		.amdhsa_system_sgpr_workgroup_info 0
		.amdhsa_system_vgpr_workitem_id 0
		.amdhsa_next_free_vgpr 126
		.amdhsa_next_free_sgpr 87
		.amdhsa_named_barrier_count 0
		.amdhsa_reserve_vcc 1
		.amdhsa_float_round_mode_32 0
		.amdhsa_float_round_mode_16_64 0
		.amdhsa_float_denorm_mode_32 3
		.amdhsa_float_denorm_mode_16_64 3
		.amdhsa_fp16_overflow 0
		.amdhsa_memory_ordered 1
		.amdhsa_forward_progress 1
		.amdhsa_inst_pref_size 35
		.amdhsa_round_robin_scheduling 0
		.amdhsa_exception_fp_ieee_invalid_op 0
		.amdhsa_exception_fp_denorm_src 0
		.amdhsa_exception_fp_ieee_div_zero 0
		.amdhsa_exception_fp_ieee_overflow 0
		.amdhsa_exception_fp_ieee_underflow 0
		.amdhsa_exception_fp_ieee_inexact 0
		.amdhsa_exception_int_div_zero 0
	.end_amdhsa_kernel
	.section	.text._ZN2at6native12_GLOBAL__N_143conv_depthwise3d_cuda_backward_input_kernelIffLi3ELi3ELi3ELin1ELin1ELin1ELi1ELi1ELi1EEEvN5torch10headeronly6detail27GenericPackedTensorAccessorINS5_14TensorAccessorIN3c108ArrayRefIlEEKT_Lm4ENS4_16DefaultPtrTraitsEiEENS_6detail16IndexBoundsCheckILm5EiEESC_Lm5ESD_iEENS6_INS7_ISA_SB_Lm4ESD_iEESH_SB_Lm5ESD_iEESI_iiiiiiiii,"axG",@progbits,_ZN2at6native12_GLOBAL__N_143conv_depthwise3d_cuda_backward_input_kernelIffLi3ELi3ELi3ELin1ELin1ELin1ELi1ELi1ELi1EEEvN5torch10headeronly6detail27GenericPackedTensorAccessorINS5_14TensorAccessorIN3c108ArrayRefIlEEKT_Lm4ENS4_16DefaultPtrTraitsEiEENS_6detail16IndexBoundsCheckILm5EiEESC_Lm5ESD_iEENS6_INS7_ISA_SB_Lm4ESD_iEESH_SB_Lm5ESD_iEESI_iiiiiiiii,comdat
.Lfunc_end19:
	.size	_ZN2at6native12_GLOBAL__N_143conv_depthwise3d_cuda_backward_input_kernelIffLi3ELi3ELi3ELin1ELin1ELin1ELi1ELi1ELi1EEEvN5torch10headeronly6detail27GenericPackedTensorAccessorINS5_14TensorAccessorIN3c108ArrayRefIlEEKT_Lm4ENS4_16DefaultPtrTraitsEiEENS_6detail16IndexBoundsCheckILm5EiEESC_Lm5ESD_iEENS6_INS7_ISA_SB_Lm4ESD_iEESH_SB_Lm5ESD_iEESI_iiiiiiiii, .Lfunc_end19-_ZN2at6native12_GLOBAL__N_143conv_depthwise3d_cuda_backward_input_kernelIffLi3ELi3ELi3ELin1ELin1ELin1ELi1ELi1ELi1EEEvN5torch10headeronly6detail27GenericPackedTensorAccessorINS5_14TensorAccessorIN3c108ArrayRefIlEEKT_Lm4ENS4_16DefaultPtrTraitsEiEENS_6detail16IndexBoundsCheckILm5EiEESC_Lm5ESD_iEENS6_INS7_ISA_SB_Lm4ESD_iEESH_SB_Lm5ESD_iEESI_iiiiiiiii
                                        ; -- End function
	.set _ZN2at6native12_GLOBAL__N_143conv_depthwise3d_cuda_backward_input_kernelIffLi3ELi3ELi3ELin1ELin1ELin1ELi1ELi1ELi1EEEvN5torch10headeronly6detail27GenericPackedTensorAccessorINS5_14TensorAccessorIN3c108ArrayRefIlEEKT_Lm4ENS4_16DefaultPtrTraitsEiEENS_6detail16IndexBoundsCheckILm5EiEESC_Lm5ESD_iEENS6_INS7_ISA_SB_Lm4ESD_iEESH_SB_Lm5ESD_iEESI_iiiiiiiii.num_vgpr, 126
	.set _ZN2at6native12_GLOBAL__N_143conv_depthwise3d_cuda_backward_input_kernelIffLi3ELi3ELi3ELin1ELin1ELin1ELi1ELi1ELi1EEEvN5torch10headeronly6detail27GenericPackedTensorAccessorINS5_14TensorAccessorIN3c108ArrayRefIlEEKT_Lm4ENS4_16DefaultPtrTraitsEiEENS_6detail16IndexBoundsCheckILm5EiEESC_Lm5ESD_iEENS6_INS7_ISA_SB_Lm4ESD_iEESH_SB_Lm5ESD_iEESI_iiiiiiiii.num_agpr, 0
	.set _ZN2at6native12_GLOBAL__N_143conv_depthwise3d_cuda_backward_input_kernelIffLi3ELi3ELi3ELin1ELin1ELin1ELi1ELi1ELi1EEEvN5torch10headeronly6detail27GenericPackedTensorAccessorINS5_14TensorAccessorIN3c108ArrayRefIlEEKT_Lm4ENS4_16DefaultPtrTraitsEiEENS_6detail16IndexBoundsCheckILm5EiEESC_Lm5ESD_iEENS6_INS7_ISA_SB_Lm4ESD_iEESH_SB_Lm5ESD_iEESI_iiiiiiiii.numbered_sgpr, 87
	.set _ZN2at6native12_GLOBAL__N_143conv_depthwise3d_cuda_backward_input_kernelIffLi3ELi3ELi3ELin1ELin1ELin1ELi1ELi1ELi1EEEvN5torch10headeronly6detail27GenericPackedTensorAccessorINS5_14TensorAccessorIN3c108ArrayRefIlEEKT_Lm4ENS4_16DefaultPtrTraitsEiEENS_6detail16IndexBoundsCheckILm5EiEESC_Lm5ESD_iEENS6_INS7_ISA_SB_Lm4ESD_iEESH_SB_Lm5ESD_iEESI_iiiiiiiii.num_named_barrier, 0
	.set _ZN2at6native12_GLOBAL__N_143conv_depthwise3d_cuda_backward_input_kernelIffLi3ELi3ELi3ELin1ELin1ELin1ELi1ELi1ELi1EEEvN5torch10headeronly6detail27GenericPackedTensorAccessorINS5_14TensorAccessorIN3c108ArrayRefIlEEKT_Lm4ENS4_16DefaultPtrTraitsEiEENS_6detail16IndexBoundsCheckILm5EiEESC_Lm5ESD_iEENS6_INS7_ISA_SB_Lm4ESD_iEESH_SB_Lm5ESD_iEESI_iiiiiiiii.private_seg_size, 0
	.set _ZN2at6native12_GLOBAL__N_143conv_depthwise3d_cuda_backward_input_kernelIffLi3ELi3ELi3ELin1ELin1ELin1ELi1ELi1ELi1EEEvN5torch10headeronly6detail27GenericPackedTensorAccessorINS5_14TensorAccessorIN3c108ArrayRefIlEEKT_Lm4ENS4_16DefaultPtrTraitsEiEENS_6detail16IndexBoundsCheckILm5EiEESC_Lm5ESD_iEENS6_INS7_ISA_SB_Lm4ESD_iEESH_SB_Lm5ESD_iEESI_iiiiiiiii.uses_vcc, 1
	.set _ZN2at6native12_GLOBAL__N_143conv_depthwise3d_cuda_backward_input_kernelIffLi3ELi3ELi3ELin1ELin1ELin1ELi1ELi1ELi1EEEvN5torch10headeronly6detail27GenericPackedTensorAccessorINS5_14TensorAccessorIN3c108ArrayRefIlEEKT_Lm4ENS4_16DefaultPtrTraitsEiEENS_6detail16IndexBoundsCheckILm5EiEESC_Lm5ESD_iEENS6_INS7_ISA_SB_Lm4ESD_iEESH_SB_Lm5ESD_iEESI_iiiiiiiii.uses_flat_scratch, 0
	.set _ZN2at6native12_GLOBAL__N_143conv_depthwise3d_cuda_backward_input_kernelIffLi3ELi3ELi3ELin1ELin1ELin1ELi1ELi1ELi1EEEvN5torch10headeronly6detail27GenericPackedTensorAccessorINS5_14TensorAccessorIN3c108ArrayRefIlEEKT_Lm4ENS4_16DefaultPtrTraitsEiEENS_6detail16IndexBoundsCheckILm5EiEESC_Lm5ESD_iEENS6_INS7_ISA_SB_Lm4ESD_iEESH_SB_Lm5ESD_iEESI_iiiiiiiii.has_dyn_sized_stack, 0
	.set _ZN2at6native12_GLOBAL__N_143conv_depthwise3d_cuda_backward_input_kernelIffLi3ELi3ELi3ELin1ELin1ELin1ELi1ELi1ELi1EEEvN5torch10headeronly6detail27GenericPackedTensorAccessorINS5_14TensorAccessorIN3c108ArrayRefIlEEKT_Lm4ENS4_16DefaultPtrTraitsEiEENS_6detail16IndexBoundsCheckILm5EiEESC_Lm5ESD_iEENS6_INS7_ISA_SB_Lm4ESD_iEESH_SB_Lm5ESD_iEESI_iiiiiiiii.has_recursion, 0
	.set _ZN2at6native12_GLOBAL__N_143conv_depthwise3d_cuda_backward_input_kernelIffLi3ELi3ELi3ELin1ELin1ELin1ELi1ELi1ELi1EEEvN5torch10headeronly6detail27GenericPackedTensorAccessorINS5_14TensorAccessorIN3c108ArrayRefIlEEKT_Lm4ENS4_16DefaultPtrTraitsEiEENS_6detail16IndexBoundsCheckILm5EiEESC_Lm5ESD_iEENS6_INS7_ISA_SB_Lm4ESD_iEESH_SB_Lm5ESD_iEESI_iiiiiiiii.has_indirect_call, 0
	.section	.AMDGPU.csdata,"",@progbits
; Kernel info:
; codeLenInByte = 4380
; TotalNumSgprs: 89
; NumVgprs: 126
; ScratchSize: 0
; MemoryBound: 0
; FloatMode: 240
; IeeeMode: 1
; LDSByteSize: 0 bytes/workgroup (compile time only)
; SGPRBlocks: 0
; VGPRBlocks: 7
; NumSGPRsForWavesPerEU: 89
; NumVGPRsForWavesPerEU: 126
; NamedBarCnt: 0
; Occupancy: 8
; WaveLimiterHint : 0
; COMPUTE_PGM_RSRC2:SCRATCH_EN: 0
; COMPUTE_PGM_RSRC2:USER_SGPR: 2
; COMPUTE_PGM_RSRC2:TRAP_HANDLER: 0
; COMPUTE_PGM_RSRC2:TGID_X_EN: 1
; COMPUTE_PGM_RSRC2:TGID_Y_EN: 0
; COMPUTE_PGM_RSRC2:TGID_Z_EN: 0
; COMPUTE_PGM_RSRC2:TIDIG_COMP_CNT: 0
	.section	.text._ZN2at6native12_GLOBAL__N_143conv_depthwise3d_cuda_backward_input_kernelIffLi3ELi3ELi3ELin1ELin1ELin1ELin1ELin1ELin1EEEvN5torch10headeronly6detail27GenericPackedTensorAccessorINS5_14TensorAccessorIN3c108ArrayRefIlEEKT_Lm4ENS4_16DefaultPtrTraitsEiEENS_6detail16IndexBoundsCheckILm5EiEESC_Lm5ESD_iEENS6_INS7_ISA_SB_Lm4ESD_iEESH_SB_Lm5ESD_iEESI_iiiiiiiii,"axG",@progbits,_ZN2at6native12_GLOBAL__N_143conv_depthwise3d_cuda_backward_input_kernelIffLi3ELi3ELi3ELin1ELin1ELin1ELin1ELin1ELin1EEEvN5torch10headeronly6detail27GenericPackedTensorAccessorINS5_14TensorAccessorIN3c108ArrayRefIlEEKT_Lm4ENS4_16DefaultPtrTraitsEiEENS_6detail16IndexBoundsCheckILm5EiEESC_Lm5ESD_iEENS6_INS7_ISA_SB_Lm4ESD_iEESH_SB_Lm5ESD_iEESI_iiiiiiiii,comdat
	.globl	_ZN2at6native12_GLOBAL__N_143conv_depthwise3d_cuda_backward_input_kernelIffLi3ELi3ELi3ELin1ELin1ELin1ELin1ELin1ELin1EEEvN5torch10headeronly6detail27GenericPackedTensorAccessorINS5_14TensorAccessorIN3c108ArrayRefIlEEKT_Lm4ENS4_16DefaultPtrTraitsEiEENS_6detail16IndexBoundsCheckILm5EiEESC_Lm5ESD_iEENS6_INS7_ISA_SB_Lm4ESD_iEESH_SB_Lm5ESD_iEESI_iiiiiiiii ; -- Begin function _ZN2at6native12_GLOBAL__N_143conv_depthwise3d_cuda_backward_input_kernelIffLi3ELi3ELi3ELin1ELin1ELin1ELin1ELin1ELin1EEEvN5torch10headeronly6detail27GenericPackedTensorAccessorINS5_14TensorAccessorIN3c108ArrayRefIlEEKT_Lm4ENS4_16DefaultPtrTraitsEiEENS_6detail16IndexBoundsCheckILm5EiEESC_Lm5ESD_iEENS6_INS7_ISA_SB_Lm4ESD_iEESH_SB_Lm5ESD_iEESI_iiiiiiiii
	.p2align	8
	.type	_ZN2at6native12_GLOBAL__N_143conv_depthwise3d_cuda_backward_input_kernelIffLi3ELi3ELi3ELin1ELin1ELin1ELin1ELin1ELin1EEEvN5torch10headeronly6detail27GenericPackedTensorAccessorINS5_14TensorAccessorIN3c108ArrayRefIlEEKT_Lm4ENS4_16DefaultPtrTraitsEiEENS_6detail16IndexBoundsCheckILm5EiEESC_Lm5ESD_iEENS6_INS7_ISA_SB_Lm4ESD_iEESH_SB_Lm5ESD_iEESI_iiiiiiiii,@function
_ZN2at6native12_GLOBAL__N_143conv_depthwise3d_cuda_backward_input_kernelIffLi3ELi3ELi3ELin1ELin1ELin1ELin1ELin1ELin1EEEvN5torch10headeronly6detail27GenericPackedTensorAccessorINS5_14TensorAccessorIN3c108ArrayRefIlEEKT_Lm4ENS4_16DefaultPtrTraitsEiEENS_6detail16IndexBoundsCheckILm5EiEESC_Lm5ESD_iEENS6_INS7_ISA_SB_Lm4ESD_iEESH_SB_Lm5ESD_iEESI_iiiiiiiii: ; @_ZN2at6native12_GLOBAL__N_143conv_depthwise3d_cuda_backward_input_kernelIffLi3ELi3ELi3ELin1ELin1ELin1ELin1ELin1ELin1EEEvN5torch10headeronly6detail27GenericPackedTensorAccessorINS5_14TensorAccessorIN3c108ArrayRefIlEEKT_Lm4ENS4_16DefaultPtrTraitsEiEENS_6detail16IndexBoundsCheckILm5EiEESC_Lm5ESD_iEENS6_INS7_ISA_SB_Lm4ESD_iEESH_SB_Lm5ESD_iEESI_iiiiiiiii
; %bb.0:
	s_clause 0x2
	s_load_b128 s[44:47], s[0:1], 0x38
	s_load_b32 s2, s[0:1], 0xc4
	s_load_b64 s[30:31], s[0:1], 0x48
	s_bfe_u32 s3, ttmp6, 0x4000c
	s_and_b32 s4, ttmp6, 15
	s_add_co_i32 s3, s3, 1
	s_getreg_b32 s5, hwreg(HW_REG_IB_STS2, 6, 4)
	s_mul_i32 s3, ttmp9, s3
	v_mov_b32_e32 v1, 0
	s_add_co_i32 s4, s4, s3
                                        ; implicit-def: $vgpr126 : SGPR spill to VGPR lane
	s_wait_kmcnt 0x0
	s_abs_i32 s33, s45
	s_and_b32 s2, s2, 0xffff
	s_cmp_eq_u32 s5, 0
	s_cselect_b32 s3, ttmp9, s4
	s_mul_i32 s4, s31, s44
	v_mad_nc_u64_u32 v[2:3], s2, s3, v[0:1]
	s_cvt_f32_u32 s3, s33
	s_ashr_i32 s5, s4, 31
	v_writelane_b32 v126, s4, 0
	s_delay_alu instid0(SALU_CYCLE_1) | instskip(SKIP_1) | instid1(VALU_DEP_3)
	v_rcp_iflag_f32_e32 v0, s3
	v_writelane_b32 v126, s5, 1
	v_cmp_gt_i64_e32 vcc_lo, s[4:5], v[2:3]
	s_delay_alu instid0(TRANS32_DEP_1)
	v_readfirstlane_b32 s3, v0
	s_and_saveexec_b32 s4, vcc_lo
	s_cbranch_execz .LBB20_62
; %bb.1:
	s_clause 0x1
	s_load_b128 s[48:51], s[0:1], 0xc
	s_load_b64 s[14:15], s[0:1], 0x0
	s_mul_f32 s3, s3, 0x4f7ffffe
	s_sub_co_i32 s8, 0, s33
	s_mov_b32 s11, 0
	s_add_nc_u64 s[6:7], s[0:1], 0xb8
	s_cvt_u32_f32 s3, s3
	s_mov_b32 s5, s11
	s_ashr_i32 s9, s45, 31
	s_load_b32 s12, s[0:1], 0xb0
	s_mul_i32 s4, s8, s3
	s_load_b256 s[36:43], s[0:1], 0x90
	s_mul_hi_u32 s4, s3, s4
                                        ; kill: killed $sgpr0_sgpr1
	s_mov_b32 s13, s11
	s_add_co_i32 s4, s3, s4
	s_load_b32 s3, s[6:7], 0x0
	s_mov_b32 s75, s11
	s_mov_b32 s77, s11
	s_mov_b32 s79, s11
	s_load_b128 s[52:55], s[0:1], 0x50
	s_wait_kmcnt 0x0
	s_abs_i32 s10, s48
	v_writelane_b32 v126, s14, 2
	s_mul_u64 s[4:5], s[10:11], s[4:5]
	s_ashr_i32 s4, s48, 31
	s_mul_i32 s6, s5, s33
	s_xor_b32 s4, s4, s9
	s_sub_co_i32 s6, s10, s6
	s_load_b32 s10, s[0:1], 0x7c
	v_writelane_b32 v126, s15, 3
	s_clause 0x1
	s_load_b64 s[60:61], s[0:1], 0x1c
	s_load_b64 s[14:15], s[0:1], 0x30
	s_add_co_i32 s7, s5, 1
	v_writelane_b32 v126, s9, 4
	s_sub_co_i32 s9, s6, s33
	s_cmp_ge_u32 s6, s33
	s_cselect_b32 s5, s7, s5
	s_cselect_b32 s6, s9, s6
	s_add_co_i32 s7, s5, 1
	s_cmp_ge_u32 s6, s33
	s_cselect_b32 s5, s7, s5
	s_load_b64 s[6:7], s[0:1], 0x60
	s_wait_xcnt 0x0
	s_xor_b32 s0, s5, s4
	s_delay_alu instid0(SALU_CYCLE_1)
	s_sub_co_i32 s1, s0, s4
	s_wait_kmcnt 0x0
	v_writelane_b32 v126, s10, 5
	s_cmp_gt_i32 s1, 0
	v_readfirstlane_b32 s0, v0
	s_mul_i32 s10, s3, s2
	v_writelane_b32 v126, s14, 6
	s_mul_f32 s0, s0, 0x4f7ffffe
	v_writelane_b32 v126, s15, 7
	s_delay_alu instid0(SALU_CYCLE_2) | instskip(NEXT) | instid1(SALU_CYCLE_3)
	s_cvt_u32_f32 s0, s0
	s_mul_i32 s8, s8, s0
	v_writelane_b32 v126, s6, 8
	v_writelane_b32 v126, s7, 9
	;; [unrolled: 1-line block ×3, first 2 shown]
	s_cselect_b32 s1, -1, 0
	s_abs_i32 s85, s30
	s_abs_i32 s86, s47
	s_lshl_b32 s3, s42, 1
	v_writelane_b32 v126, s1, 11
	s_lshl_b32 s1, s12, 1
	s_cvt_f32_u32 s2, s86
	s_abs_i32 s87, s46
	s_sub_co_i32 s4, 0, s86
	v_writelane_b32 v126, s12, 12
	v_rcp_iflag_f32_e32 v4, s2
	s_abs_i32 s91, s36
	s_sub_co_i32 s6, 0, s87
	s_cvt_f32_u32 s7, s91
	v_writelane_b32 v126, s1, 13
	s_lshl_b32 s1, s43, 1
	s_abs_i32 s93, s37
	s_abs_i32 s94, s38
	s_ashr_i32 s96, s37, 31
	v_writelane_b32 v126, s1, 14
	s_cvt_f32_u32 s1, s85
	s_ashr_i32 s97, s38, 31
	s_delay_alu instid0(SALU_CYCLE_2) | instskip(SKIP_4) | instid1(TRANS32_DEP_1)
	v_rcp_iflag_f32_e32 v0, s1
	v_writelane_b32 v126, s3, 15
	s_ashr_i32 s1, s30, 31
	s_cvt_f32_u32 s3, s87
	v_writelane_b32 v126, s1, 16
	v_readfirstlane_b32 s2, v0
	s_ashr_i32 s1, s47, 31
	v_rcp_iflag_f32_e32 v5, s3
	v_nop
	v_readfirstlane_b32 s3, v4
	v_writelane_b32 v126, s1, 17
	s_mul_f32 s2, s2, 0x4f7ffffe
	s_sub_co_i32 s1, 0, s85
	v_rcp_iflag_f32_e32 v0, s7
	s_mul_f32 s3, s3, 0x4f7ffffe
	s_cvt_u32_f32 s2, s2
	v_readfirstlane_b32 s5, v5
	s_mov_b32 s7, s11
	s_cvt_u32_f32 s3, s3
	s_mul_i32 s1, s1, s2
	s_delay_alu instid0(SALU_CYCLE_1) | instskip(NEXT) | instid1(SALU_CYCLE_1)
	s_mul_hi_u32 s1, s2, s1
	s_mul_i32 s4, s4, s3
	s_add_co_i32 s12, s2, s1
	s_mul_hi_u32 s4, s3, s4
	v_writelane_b32 v126, s12, 18
	s_add_co_i32 s2, s3, s4
	s_mov_b32 s3, s11
	s_mul_f32 s5, s5, 0x4f7ffffe
	s_ashr_i32 s1, s46, 31
	v_writelane_b32 v126, s13, 19
	s_delay_alu instid0(SALU_CYCLE_1) | instskip(SKIP_1) | instid1(SALU_CYCLE_2)
	s_cvt_u32_f32 s5, s5
	v_writelane_b32 v126, s2, 20
	s_mul_i32 s6, s6, s5
	v_writelane_b32 v126, s3, 21
	v_readfirstlane_b32 s2, v0
	s_mul_hi_u32 s3, s0, s8
	v_writelane_b32 v126, s1, 22
	s_mul_hi_u32 s1, s5, s6
	s_mul_f32 s2, s2, 0x4f7ffffe
	s_add_co_i32 s4, s5, s1
	s_cvt_f32_u32 s1, s93
	s_mov_b32 s5, s11
	v_writelane_b32 v126, s4, 23
	s_cvt_u32_f32 s2, s2
	v_rcp_iflag_f32_e32 v0, s1
	s_cvt_f32_u32 s1, s94
	s_add_co_i32 s6, s0, s3
	v_writelane_b32 v126, s5, 24
	s_sub_co_i32 s4, 0, s91
	v_rcp_iflag_f32_e32 v4, s1
	s_mul_i32 s4, s4, s2
	v_nop
	v_readfirstlane_b32 s1, v0
	v_writelane_b32 v126, s6, 25
	s_mul_hi_u32 s0, s2, s4
	s_ashr_i32 s4, s36, 31
	s_add_co_i32 s74, s2, s0
	v_readfirstlane_b32 s3, v4
	s_mul_f32 s1, s1, 0x4f7ffffe
	v_writelane_b32 v126, s7, 26
	s_sub_co_i32 s2, 0, s93
	s_delay_alu instid0(SALU_CYCLE_1)
	s_cvt_u32_f32 s0, s1
	s_mul_f32 s1, s3, 0x4f7ffffe
	v_writelane_b32 v126, s4, 27
	s_sub_co_i32 s3, 0, s94
	s_mul_i32 s2, s2, s0
	s_cvt_u32_f32 s1, s1
	s_mul_hi_u32 s2, s0, s2
	v_writelane_b32 v126, s10, 28
	s_add_co_i32 s76, s0, s2
	s_mul_i32 s3, s3, s1
	s_mov_b32 s98, s11
	s_mul_hi_u32 s0, s1, s3
	v_writelane_b32 v126, s11, 29
	s_add_co_i32 s78, s1, s0
	s_branch .LBB20_4
.LBB20_2:                               ;   in Loop: Header=BB20_4 Depth=1
	s_or_b32 exec_lo, exec_lo, s99
.LBB20_3:                               ;   in Loop: Header=BB20_4 Depth=1
	v_mul_lo_u32 v4, v69, s31
	v_mul_lo_u32 v6, s52, v70
	;; [unrolled: 1-line block ×3, first 2 shown]
	v_readlane_b32 s0, v126, 6
	v_readlane_b32 s1, v126, 7
	v_mul_lo_u32 v10, s54, v67
	v_mul_lo_u32 v12, s55, v66
	v_dual_ashrrev_i32 v5, 31, v4 :: v_dual_ashrrev_i32 v7, 31, v6
	s_delay_alu instid0(VALU_DEP_3) | instskip(NEXT) | instid1(VALU_DEP_2)
	v_dual_ashrrev_i32 v9, 31, v8 :: v_dual_ashrrev_i32 v11, 31, v10
	v_lshl_add_u64 v[4:5], v[4:5], 2, s[0:1]
	v_readlane_b32 s0, v126, 28
	v_readlane_b32 s1, v126, 29
	v_ashrrev_i32_e32 v13, 31, v12
	s_delay_alu instid0(VALU_DEP_4) | instskip(NEXT) | instid1(VALU_DEP_3)
	v_lshl_add_u64 v[4:5], v[6:7], 2, v[4:5]
	v_add_nc_u64_e32 v[2:3], s[0:1], v[2:3]
	v_readlane_b32 s0, v126, 0
	v_readlane_b32 s1, v126, 1
	s_delay_alu instid0(VALU_DEP_4) | instskip(NEXT) | instid1(VALU_DEP_2)
	v_lshl_add_u64 v[4:5], v[8:9], 2, v[4:5]
	v_cmp_le_i64_e32 vcc_lo, s[0:1], v[2:3]
	s_delay_alu instid0(VALU_DEP_2) | instskip(NEXT) | instid1(VALU_DEP_1)
	v_lshl_add_u64 v[4:5], v[10:11], 2, v[4:5]
	v_lshl_add_u64 v[4:5], v[12:13], 2, v[4:5]
	s_or_b32 s98, vcc_lo, s98
	global_store_b32 v[4:5], v72, off
	s_wait_xcnt 0x0
	s_and_not1_b32 exec_lo, exec_lo, s98
	s_cbranch_execz .LBB20_62
.LBB20_4:                               ; =>This Loop Header: Depth=1
                                        ;     Child Loop BB20_7 Depth 2
	v_sub_nc_u32_e32 v0, 0, v2
	s_delay_alu instid0(VALU_DEP_2) | instskip(SKIP_1) | instid1(VALU_DEP_3)
	v_readlane_b32 s0, v126, 18
	v_readlane_b32 s1, v126, 19
	v_max_i32_e32 v0, v2, v0
	s_delay_alu instid0(VALU_DEP_1) | instskip(SKIP_1) | instid1(VALU_DEP_2)
	v_mul_u64_e32 v[4:5], s[0:1], v[0:1]
	v_readlane_b32 s0, v126, 16
	v_mul_lo_u32 v4, v5, s85
	s_delay_alu instid0(VALU_DEP_1) | instskip(NEXT) | instid1(VALU_DEP_1)
	v_dual_sub_nc_u32 v0, v0, v4 :: v_dual_add_nc_u32 v4, 1, v5
	v_cmp_le_u32_e32 vcc_lo, s85, v0
	s_delay_alu instid0(VALU_DEP_2) | instskip(SKIP_2) | instid1(VALU_DEP_2)
	v_cndmask_b32_e32 v4, v5, v4, vcc_lo
	v_subrev_nc_u32_e32 v6, s85, v0
	v_ashrrev_i32_e32 v5, 31, v2
	v_dual_cndmask_b32 v0, v0, v6, vcc_lo :: v_dual_add_nc_u32 v6, 1, v4
	s_delay_alu instid0(VALU_DEP_1) | instskip(NEXT) | instid1(VALU_DEP_3)
	v_cmp_le_u32_e32 vcc_lo, s85, v0
	v_xor_b32_e32 v5, s0, v5
	v_readlane_b32 s0, v126, 20
	v_readlane_b32 s1, v126, 21
	v_cndmask_b32_e32 v0, v4, v6, vcc_lo
	s_delay_alu instid0(VALU_DEP_1) | instskip(NEXT) | instid1(VALU_DEP_1)
	v_xor_b32_e32 v0, v0, v5
	v_sub_nc_u32_e32 v6, v0, v5
	s_delay_alu instid0(VALU_DEP_1) | instskip(NEXT) | instid1(VALU_DEP_1)
	v_sub_nc_u32_e32 v0, 0, v6
	v_max_i32_e32 v0, v6, v0
	s_delay_alu instid0(VALU_DEP_1) | instskip(SKIP_1) | instid1(VALU_DEP_2)
	v_mul_u64_e32 v[4:5], s[0:1], v[0:1]
	v_readlane_b32 s0, v126, 17
	v_mul_lo_u32 v4, v5, s86
	s_delay_alu instid0(VALU_DEP_1) | instskip(NEXT) | instid1(VALU_DEP_1)
	v_dual_sub_nc_u32 v0, v0, v4 :: v_dual_add_nc_u32 v4, 1, v5
	v_subrev_nc_u32_e32 v7, s86, v0
	v_cmp_le_u32_e32 vcc_lo, s86, v0
	s_delay_alu instid0(VALU_DEP_2) | instskip(NEXT) | instid1(VALU_DEP_1)
	v_dual_cndmask_b32 v4, v5, v4, vcc_lo :: v_dual_cndmask_b32 v0, v0, v7, vcc_lo
	v_dual_ashrrev_i32 v5, 31, v6 :: v_dual_add_nc_u32 v7, 1, v4
	s_delay_alu instid0(VALU_DEP_2) | instskip(NEXT) | instid1(VALU_DEP_2)
	v_cmp_le_u32_e32 vcc_lo, s86, v0
	v_xor_b32_e32 v5, s0, v5
	v_readlane_b32 s0, v126, 23
	v_readlane_b32 s1, v126, 24
	v_cndmask_b32_e32 v0, v4, v7, vcc_lo
	s_delay_alu instid0(VALU_DEP_1) | instskip(NEXT) | instid1(VALU_DEP_1)
	v_xor_b32_e32 v0, v0, v5
	v_sub_nc_u32_e32 v7, v0, v5
	s_delay_alu instid0(VALU_DEP_1) | instskip(NEXT) | instid1(VALU_DEP_1)
	v_sub_nc_u32_e32 v0, 0, v7
	v_max_i32_e32 v0, v7, v0
	s_delay_alu instid0(VALU_DEP_1) | instskip(SKIP_1) | instid1(VALU_DEP_2)
	v_mul_u64_e32 v[4:5], s[0:1], v[0:1]
	v_readlane_b32 s0, v126, 22
	v_mul_lo_u32 v4, v5, s87
	s_delay_alu instid0(VALU_DEP_1) | instskip(NEXT) | instid1(VALU_DEP_1)
	v_dual_sub_nc_u32 v0, v0, v4 :: v_dual_add_nc_u32 v4, 1, v5
	v_subrev_nc_u32_e32 v8, s87, v0
	v_cmp_le_u32_e32 vcc_lo, s87, v0
	s_delay_alu instid0(VALU_DEP_3) | instskip(NEXT) | instid1(VALU_DEP_1)
	v_dual_cndmask_b32 v4, v5, v4 :: v_dual_ashrrev_i32 v5, 31, v7
	v_dual_cndmask_b32 v0, v0, v8, vcc_lo :: v_dual_bitop2_b32 v5, s0, v5 bitop3:0x14
	s_delay_alu instid0(VALU_DEP_2) | instskip(NEXT) | instid1(VALU_DEP_2)
	v_add_nc_u32_e32 v8, 1, v4
	v_cmp_le_u32_e32 vcc_lo, s87, v0
	v_readlane_b32 s0, v126, 25
	v_readlane_b32 s1, v126, 26
	s_delay_alu instid0(VALU_DEP_4) | instskip(NEXT) | instid1(VALU_DEP_1)
	v_cndmask_b32_e32 v0, v4, v8, vcc_lo
	v_xor_b32_e32 v0, v0, v5
	s_delay_alu instid0(VALU_DEP_1) | instskip(NEXT) | instid1(VALU_DEP_1)
	v_sub_nc_u32_e32 v8, v0, v5
	v_sub_nc_u32_e32 v0, 0, v8
	s_delay_alu instid0(VALU_DEP_1) | instskip(NEXT) | instid1(VALU_DEP_1)
	v_max_i32_e32 v0, v8, v0
	v_mul_u64_e32 v[4:5], s[0:1], v[0:1]
	v_readlane_b32 s0, v126, 4
	s_delay_alu instid0(VALU_DEP_2) | instskip(NEXT) | instid1(VALU_DEP_1)
	v_mul_lo_u32 v4, v5, s33
	v_dual_sub_nc_u32 v0, v0, v4 :: v_dual_add_nc_u32 v4, 1, v5
	s_delay_alu instid0(VALU_DEP_1) | instskip(SKIP_1) | instid1(VALU_DEP_2)
	v_subrev_nc_u32_e32 v9, s33, v0
	v_cmp_le_u32_e32 vcc_lo, s33, v0
	v_dual_cndmask_b32 v4, v5, v4, vcc_lo :: v_dual_cndmask_b32 v0, v0, v9, vcc_lo
	v_ashrrev_i32_e32 v5, 31, v8
	s_delay_alu instid0(VALU_DEP_2) | instskip(NEXT) | instid1(VALU_DEP_3)
	v_add_nc_u32_e32 v9, 1, v4
	v_cmp_le_u32_e32 vcc_lo, s33, v0
	s_delay_alu instid0(VALU_DEP_3) | instskip(SKIP_1) | instid1(VALU_DEP_4)
	v_xor_b32_e32 v5, s0, v5
	v_readlane_b32 s0, v126, 11
	v_cndmask_b32_e32 v0, v4, v9, vcc_lo
	v_mul_lo_u32 v4, v7, s47
	s_and_not1_b32 vcc_lo, exec_lo, s0
	s_delay_alu instid0(VALU_DEP_1) | instskip(NEXT) | instid1(VALU_DEP_1)
	v_dual_sub_nc_u32 v67, v6, v4 :: v_dual_bitop2_b32 v0, v0, v5 bitop3:0x14
	v_sub_nc_u32_e32 v69, v0, v5
	v_mul_lo_u32 v0, v6, s30
	v_mul_lo_u32 v5, v8, s46
	s_delay_alu instid0(VALU_DEP_2) | instskip(NEXT) | instid1(VALU_DEP_4)
	v_sub_nc_u32_e32 v66, v2, v0
	v_mul_lo_u32 v9, v69, s45
	s_delay_alu instid0(VALU_DEP_3) | instskip(NEXT) | instid1(VALU_DEP_2)
	v_sub_nc_u32_e32 v68, v7, v5
	v_sub_nc_u32_e32 v70, v8, v9
	s_cbranch_vccnz .LBB20_61
; %bb.5:                                ;   in Loop: Header=BB20_4 Depth=1
	s_delay_alu instid0(VALU_DEP_2) | instskip(SKIP_3) | instid1(VALU_DEP_4)
	v_dual_add_nc_u32 v15, s39, v68 :: v_dual_add_nc_u32 v16, s40, v67
	v_readlane_b32 s0, v126, 14
	v_mov_b32_e32 v72, 0
	v_readlane_b32 s2, v126, 27
	v_dual_sub_nc_u32 v0, 0, v15 :: v_dual_sub_nc_u32 v5, 0, v16
	s_delay_alu instid0(VALU_DEP_4) | instskip(SKIP_1) | instid1(VALU_DEP_3)
	v_subrev_nc_u32_e32 v14, s0, v16
	v_subrev_nc_u32_e32 v24, s43, v16
	v_dual_ashrrev_i32 v7, 31, v15 :: v_dual_max_i32 v0, v15, v0
	v_add_nc_u32_e32 v17, s41, v66
	v_readlane_b32 s1, v126, 10
	s_delay_alu instid0(VALU_DEP_3) | instskip(NEXT) | instid1(VALU_DEP_4)
	v_dual_sub_nc_u32 v25, 0, v24 :: v_dual_bitop2_b32 v33, s2, v7 bitop3:0x14
	v_mul_u64_e32 v[12:13], s[74:75], v[0:1]
	v_mul_lo_u32 v6, s60, v69
	s_mul_i32 s0, s61, s1
	v_mul_lo_u32 v71, v70, s1
	v_subrev_nc_u32_e32 v22, s42, v15
	s_mov_b32 s99, 0
	v_dual_ashrrev_i32 v12, 31, v17 :: v_dual_ashrrev_i32 v27, 31, v14
	s_delay_alu instid0(VALU_DEP_2) | instskip(NEXT) | instid1(VALU_DEP_2)
	v_dual_ashrrev_i32 v34, 31, v24 :: v_dual_ashrrev_i32 v36, 31, v22
	v_dual_sub_nc_u32 v26, 0, v22 :: v_dual_bitop2_b32 v28, s97, v12 bitop3:0x14
	v_add_nc_u32_e32 v73, s1, v71
	v_mul_lo_u32 v4, v13, s91
	s_delay_alu instid0(VALU_DEP_1) | instskip(SKIP_2) | instid1(VALU_DEP_3)
	v_sub_nc_u32_e32 v19, v0, v4
	v_max_i32_e32 v0, v16, v5
	v_sub_nc_u32_e32 v5, 0, v17
	v_cmp_le_u32_e32 vcc_lo, s91, v19
	s_delay_alu instid0(VALU_DEP_3) | instskip(SKIP_1) | instid1(VALU_DEP_1)
	v_mul_u64_e32 v[10:11], s[76:77], v[0:1]
	v_ashrrev_i32_e32 v10, 31, v16
	v_xor_b32_e32 v30, s96, v10
	s_delay_alu instid0(VALU_DEP_3) | instskip(NEXT) | instid1(VALU_DEP_1)
	v_mul_lo_u32 v4, v11, s93
	v_dual_sub_nc_u32 v18, v0, v4 :: v_dual_max_i32 v0, v17, v5
	v_sub_nc_u32_e32 v5, 0, v14
	s_delay_alu instid0(VALU_DEP_2) | instskip(NEXT) | instid1(VALU_DEP_1)
	v_mul_u64_e32 v[8:9], s[78:79], v[0:1]
	v_mul_lo_u32 v4, v9, s94
	s_delay_alu instid0(VALU_DEP_1) | instskip(NEXT) | instid1(VALU_DEP_1)
	v_dual_sub_nc_u32 v8, v0, v4 :: v_dual_max_i32 v0, v14, v5
	v_mul_u64_e32 v[4:5], s[76:77], v[0:1]
	v_mul_lo_u32 v4, s0, v70
	v_readlane_b32 s0, v126, 15
	s_delay_alu instid0(VALU_DEP_1) | instskip(SKIP_1) | instid1(VALU_DEP_2)
	v_subrev_nc_u32_e32 v20, s0, v15
	v_readlane_b32 s0, v126, 12
	v_dual_ashrrev_i32 v35, 31, v20 :: v_dual_sub_nc_u32 v31, 0, v20
	s_delay_alu instid0(VALU_DEP_2) | instskip(SKIP_1) | instid1(VALU_DEP_2)
	v_subrev_nc_u32_e32 v46, s0, v17
	v_readlane_b32 s0, v126, 13
	v_dual_ashrrev_i32 v37, 31, v46 :: v_dual_sub_nc_u32 v21, 0, v46
	s_delay_alu instid0(VALU_DEP_2) | instskip(SKIP_1) | instid1(VALU_DEP_2)
	v_subrev_nc_u32_e32 v64, s0, v17
	v_readlane_b32 s0, v126, 5
	v_dual_ashrrev_i32 v38, 31, v64 :: v_dual_sub_nc_u32 v23, 0, v64
	s_delay_alu instid0(VALU_DEP_2) | instskip(SKIP_3) | instid1(VALU_DEP_1)
	v_mul_lo_u32 v10, s0, v71
	v_readlane_b32 s0, v126, 2
	v_readlane_b32 s1, v126, 3
	v_mul_lo_u32 v7, v5, s93
	v_dual_add_nc_u32 v12, 1, v13 :: v_dual_sub_nc_u32 v32, v0, v7
	v_dual_ashrrev_i32 v7, 31, v6 :: v_dual_max_i32 v0, v24, v25
	v_subrev_nc_u32_e32 v25, s91, v19
	s_delay_alu instid0(VALU_DEP_3) | instskip(NEXT) | instid1(VALU_DEP_3)
	v_dual_cndmask_b32 v39, v13, v12, vcc_lo :: v_dual_bitop2_b32 v29, s96, v27 bitop3:0x14
	v_mul_u64_e32 v[12:13], s[76:77], v[0:1]
	s_delay_alu instid0(VALU_DEP_3) | instskip(NEXT) | instid1(VALU_DEP_3)
	v_dual_cndmask_b32 v25, v19, v25, vcc_lo :: v_dual_bitop2_b32 v12, s96, v34 bitop3:0x14
	v_dual_add_nc_u32 v34, 1, v39 :: v_dual_bitop2_b32 v19, s2, v36 bitop3:0x14
	v_subrev_nc_u32_e32 v36, s93, v18
	v_lshl_add_u64 v[6:7], v[6:7], 2, s[0:1]
	s_delay_alu instid0(VALU_DEP_4)
	v_cmp_le_u32_e32 vcc_lo, s91, v25
	v_xor_b32_e32 v27, s2, v35
	v_add_nc_u32_e32 v35, 1, v11
	v_readlane_b32 s0, v126, 8
	v_dual_cndmask_b32 v34, v39, v34, vcc_lo :: v_dual_bitop2_b32 v25, s97, v37 bitop3:0x14
	v_cmp_le_u32_e32 vcc_lo, s93, v18
	v_xor_b32_e32 v48, s97, v38
	v_subrev_nc_u32_e32 v37, s94, v8
	v_readlane_b32 s1, v126, 9
	v_dual_cndmask_b32 v35, v11, v35 :: v_dual_cndmask_b32 v18, v18, v36
	s_delay_alu instid0(VALU_DEP_1) | instskip(NEXT) | instid1(VALU_DEP_2)
	v_dual_add_nc_u32 v36, 1, v35 :: v_dual_bitop2_b32 v34, v34, v33 bitop3:0x14
	v_cmp_le_u32_e32 vcc_lo, s93, v18
	s_delay_alu instid0(VALU_DEP_2) | instskip(NEXT) | instid1(VALU_DEP_3)
	v_dual_ashrrev_i32 v11, 31, v10 :: v_dual_sub_nc_u32 v47, v34, v33
	v_dual_add_nc_u32 v33, 1, v9 :: v_dual_cndmask_b32 v35, v35, v36, vcc_lo
	v_cmp_le_u32_e32 vcc_lo, s94, v8
	s_delay_alu instid0(VALU_DEP_3) | instskip(SKIP_1) | instid1(VALU_DEP_4)
	v_mul_lo_u32 v18, v47, s50
	v_cmp_gt_i32_e64 s17, s49, v47
	v_dual_cndmask_b32 v34, v9, v33, vcc_lo :: v_dual_bitop2_b32 v36, v35, v30 bitop3:0x14
	v_mul_lo_u32 v33, v47, s36
	v_mul_lo_u32 v35, v13, s93
	v_cndmask_b32_e32 v37, v8, v37, vcc_lo
	v_lshl_add_u64 v[8:9], v[10:11], 2, s[0:1]
	v_add_nc_u32_e32 v38, 1, v34
	s_delay_alu instid0(VALU_DEP_3) | instskip(SKIP_1) | instid1(VALU_DEP_3)
	v_cmp_le_u32_e32 vcc_lo, s94, v37
	v_cmp_eq_u32_e64 s1, v33, v15
	v_dual_cndmask_b32 v10, v34, v38 :: v_dual_sub_nc_u32 v33, v0, v35
	v_sub_nc_u32_e32 v49, v36, v30
	v_max_i32_e32 v0, v20, v31
	v_cmp_le_u32_e32 vcc_lo, s93, v32
	s_delay_alu instid0(VALU_DEP_4)
	v_xor_b32_e32 v10, v10, v28
	v_cmp_le_u32_e64 s0, s93, v33
	v_add_nc_u32_e32 v15, v49, v18
	v_mul_u64_e32 v[30:31], s[74:75], v[0:1]
	v_mul_lo_u32 v11, v49, s37
	v_sub_nc_u32_e32 v28, v10, v28
	v_subrev_nc_u32_e32 v10, s93, v32
	v_mul_lo_u32 v50, v15, s51
	v_add_nc_u32_e32 v15, 1, v5
	v_cmp_gt_i32_e64 s18, s50, v49
	v_or_b32_e32 v30, v28, v49
	v_cmp_gt_i32_e64 s2, s51, v28
	s_delay_alu instid0(VALU_DEP_4) | instskip(SKIP_2) | instid1(VALU_DEP_3)
	v_dual_cndmask_b32 v5, v5, v15 :: v_dual_cndmask_b32 v10, v32, v10
	v_cmp_eq_u32_e64 s5, v11, v16
	v_mul_lo_u32 v11, v28, s38
	v_dual_add_nc_u32 v15, 1, v5 :: v_dual_bitop2_b32 v16, v30, v47 bitop3:0x54
	s_delay_alu instid0(VALU_DEP_4)
	v_cmp_le_u32_e32 vcc_lo, s93, v10
	v_add_nc_u32_e32 v10, v28, v50
	s_and_b32 s12, s2, s18
	s_and_b32 s62, s1, s5
	v_cndmask_b32_e32 v5, v5, v15, vcc_lo
	v_cmp_lt_i32_e32 vcc_lo, -1, v16
	v_subrev_nc_u32_e32 v16, s93, v33
	v_cmp_eq_u32_e64 s7, v11, v17
	v_dual_ashrrev_i32 v11, 31, v10 :: v_dual_add_nc_u32 v15, 1, v13
	s_and_b32 s3, s12, vcc_lo
	v_cndmask_b32_e64 v16, v33, v16, s0
	s_and_b32 s100, s3, s17
	s_and_b32 vcc_lo, s62, s7
	v_mul_lo_u32 v32, v31, s91
	v_xor_b32_e32 v5, v5, v29
	s_delay_alu instid0(VALU_DEP_1) | instskip(SKIP_2) | instid1(VALU_DEP_3)
	v_sub_nc_u32_e32 v5, v5, v29
	v_cndmask_b32_e64 v13, v13, v15, s0
	v_cmp_le_u32_e64 s0, s93, v16
	v_mul_lo_u32 v15, v5, s37
	s_delay_alu instid0(VALU_DEP_1) | instskip(SKIP_4) | instid1(VALU_DEP_4)
	v_cmp_eq_u32_e64 s6, v15, v14
	v_dual_sub_nc_u32 v14, v0, v32 :: v_dual_max_i32 v0, v22, v26
	v_or_b32_e32 v29, v28, v5
	v_dual_add_nc_u32 v17, 1, v13 :: v_dual_add_nc_u32 v33, v5, v18
	v_cmp_gt_i32_e64 s19, s50, v5
	v_subrev_nc_u32_e32 v15, s91, v14
	s_and_b32 s89, s1, s6
	v_mul_lo_u32 v51, v33, s51
	v_cndmask_b32_e64 v13, v13, v17, s0
	v_mul_u64_e32 v[16:17], s[74:75], v[0:1]
	s_and_b32 s13, s2, s19
	s_delay_alu instid0(VALU_DEP_2) | instskip(NEXT) | instid1(VALU_DEP_1)
	v_xor_b32_e32 v13, v13, v12
	v_dual_sub_nc_u32 v52, v13, v12 :: v_dual_add_nc_u32 v13, 1, v31
	v_or_b32_e32 v34, v29, v47
	v_add_nc_u32_e32 v12, v28, v51
	s_delay_alu instid0(VALU_DEP_3) | instskip(SKIP_1) | instid1(VALU_DEP_4)
	v_add_nc_u32_e32 v18, v52, v18
	v_mul_lo_u32 v16, v52, s37
	v_cmp_lt_i32_e64 s0, -1, v34
	v_cmp_gt_i32_e64 s20, s50, v52
	s_delay_alu instid0(VALU_DEP_4)
	v_mul_lo_u32 v53, v18, s51
	s_and_b32 s3, s13, s0
	v_cmp_le_u32_e64 s0, s91, v14
	s_and_b32 s101, s3, s17
	s_and_b32 s14, s2, s20
	v_cmp_eq_u32_e64 s8, v16, v24
	v_dual_cndmask_b32 v13, v31, v13, s0 :: v_dual_bitop2_b32 v31, v28, v52 bitop3:0x54
	v_cndmask_b32_e64 v14, v14, v15, s0
	s_and_b32 s66, s1, s8
	s_delay_alu instid0(VALU_DEP_2) | instskip(NEXT) | instid1(VALU_DEP_2)
	v_dual_add_nc_u32 v15, 1, v13 :: v_dual_bitop2_b32 v26, v31, v47 bitop3:0x54
	v_cmp_le_u32_e64 s0, s91, v14
	v_add_nc_u32_e32 v14, v28, v53
	s_and_b32 s1, s66, s7
	v_cmp_lt_i32_e64 s3, -1, v26
	v_cndmask_b32_e64 v13, v13, v15, s0
	v_mul_lo_u32 v26, v17, s91
	s_and_b32 s0, s89, s7
	s_and_b32 s2, s14, s3
	s_delay_alu instid0(VALU_DEP_2) | instskip(SKIP_1) | instid1(VALU_DEP_1)
	v_dual_ashrrev_i32 v13, 31, v12 :: v_dual_bitop2_b32 v15, v13, v27 bitop3:0x14
	s_and_b32 s102, s2, s17
	v_dual_sub_nc_u32 v54, v15, v27 :: v_dual_ashrrev_i32 v15, 31, v14
	s_delay_alu instid0(VALU_DEP_1)
	v_mul_lo_u32 v27, v54, s36
	v_or_b32_e32 v18, v31, v54
	v_mul_lo_u32 v32, v54, s50
	v_or_b32_e32 v16, v30, v54
	v_or_b32_e32 v24, v29, v54
	v_cmp_gt_i32_e64 s27, s49, v54
	s_delay_alu instid0(VALU_DEP_3)
	v_cmp_lt_i32_e64 s2, -1, v16
	v_add_nc_u32_e32 v16, 1, v17
	v_cmp_lt_i32_e64 s3, -1, v18
	v_dual_sub_nc_u32 v18, v0, v26 :: v_dual_max_i32 v0, v46, v21
	s_and_b32 s9, s12, s2
	v_cmp_eq_u32_e64 s2, v27, v20
	s_and_b32 s10, s14, s3
	v_add_nc_u32_e32 v21, v52, v32
	v_mul_u64_e32 v[26:27], s[78:79], v[0:1]
	v_subrev_nc_u32_e32 v26, s91, v18
	v_cmp_le_u32_e64 s3, s91, v18
	v_cmp_lt_i32_e64 s4, -1, v24
	v_add_nc_u32_e32 v24, v5, v32
	v_mul_lo_u32 v55, v21, s51
	v_add_nc_u32_e32 v20, v49, v32
	v_dual_cndmask_b32 v16, v17, v16, s3 :: v_dual_cndmask_b32 v17, v18, v26, s3
	s_delay_alu instid0(VALU_DEP_4) | instskip(SKIP_1) | instid1(VALU_DEP_3)
	v_mul_lo_u32 v57, v24, s51
	s_and_b32 s103, s9, s27
	v_mul_lo_u32 v58, v20, s51
	s_delay_alu instid0(VALU_DEP_3)
	v_add_nc_u32_e32 v18, 1, v16
	v_cmp_le_u32_e64 s3, s91, v17
	s_and_b32 s104, s10, s27
	s_and_b32 s67, s2, s5
	;; [unrolled: 1-line block ×4, first 2 shown]
	v_cndmask_b32_e64 v16, v16, v18, s3
	v_dual_add_nc_u32 v18, v28, v55 :: v_dual_add_nc_u32 v20, v28, v57
	s_and_b32 s92, s2, s6
	s_and_b32 vcc_hi, s4, s27
	s_delay_alu instid0(VALU_DEP_2) | instskip(NEXT) | instid1(VALU_DEP_2)
	v_xor_b32_e32 v17, v16, v19
	v_dual_add_nc_u32 v16, v28, v58 :: v_dual_ashrrev_i32 v21, 31, v20
	s_and_b32 s2, s67, s7
	s_and_b32 s3, s90, s7
	s_delay_alu instid0(VALU_DEP_1) | instskip(SKIP_3) | instid1(VALU_DEP_3)
	v_dual_sub_nc_u32 v56, v17, v19 :: v_dual_ashrrev_i32 v17, 31, v16
	v_ashrrev_i32_e32 v19, 31, v18
	s_and_b32 s4, s92, s7
	v_mul_lo_u32 v32, v27, s94
	v_mul_lo_u32 v24, v56, s36
	v_or_b32_e32 v26, v30, v56
	v_or_b32_e32 v30, v31, v56
	v_mul_lo_u32 v31, v56, s50
	v_cmp_gt_i32_e64 s28, s49, v56
	s_delay_alu instid0(VALU_DEP_4)
	v_cmp_lt_i32_e64 s9, -1, v26
	v_dual_add_nc_u32 v26, 1, v27 :: v_dual_sub_nc_u32 v0, v0, v32
	s_and_b32 s12, s12, s9
	v_cmp_eq_u32_e64 s9, v24, v22
	s_and_b32 s58, s12, s28
	v_add_nc_u32_e32 v24, v52, v31
	v_cmp_lt_i32_e64 s10, -1, v30
	v_add_nc_u32_e32 v22, v49, v31
	s_and_b32 s68, s9, s5
	s_and_b32 s69, s9, s8
	v_mul_lo_u32 v62, v24, s51
	s_and_b32 s10, s14, s10
	v_mul_lo_u32 v59, v22, s51
	s_and_b32 s59, s10, s28
	v_cmp_le_u32_e64 s10, s94, v0
	v_or_b32_e32 v29, v29, v56
	s_and_b32 s70, s9, s6
	s_and_b32 s6, s69, s7
	v_cndmask_b32_e64 v26, v27, v26, s10
	s_delay_alu instid0(VALU_DEP_2) | instskip(SKIP_2) | instid1(VALU_DEP_4)
	v_cmp_lt_i32_e64 s11, -1, v29
	v_add_nc_u32_e32 v29, v5, v31
	v_subrev_nc_u32_e32 v30, s94, v0
	v_add_nc_u32_e32 v27, 1, v26
	s_and_b32 s11, s13, s11
	s_delay_alu instid0(VALU_DEP_3) | instskip(NEXT) | instid1(VALU_DEP_3)
	v_mul_lo_u32 v63, v29, s51
	v_cndmask_b32_e64 v0, v0, v30, s10
	v_add_nc_u32_e32 v24, v28, v62
	s_and_b32 s48, s11, s28
	s_delay_alu instid0(VALU_DEP_2) | instskip(SKIP_1) | instid1(VALU_DEP_2)
	v_cmp_le_u32_e64 s5, s94, v0
	v_max_i32_e32 v0, v64, v23
	v_cndmask_b32_e64 v22, v26, v27, s5
	s_delay_alu instid0(VALU_DEP_2) | instskip(SKIP_4) | instid1(VALU_DEP_1)
	v_mul_u64_e32 v[60:61], s[78:79], v[0:1]
	v_add_nc_u32_e32 v26, v28, v63
	s_and_b32 s5, s68, s7
	s_and_b32 s7, s70, s7
	v_dual_add_nc_u32 v22, v28, v59 :: v_dual_bitop2_b32 v23, v22, v25 bitop3:0x14
	v_dual_ashrrev_i32 v27, 31, v26 :: v_dual_sub_nc_u32 v29, v23, v25
	s_delay_alu instid0(VALU_DEP_2) | instskip(NEXT) | instid1(VALU_DEP_2)
	v_dual_ashrrev_i32 v23, 31, v22 :: v_dual_ashrrev_i32 v25, 31, v24
	v_dual_add_nc_u32 v28, v29, v50 :: v_dual_bitop2_b32 v31, v29, v5 bitop3:0x54
	v_dual_add_nc_u32 v30, v29, v53 :: v_dual_bitop2_b32 v33, v29, v52 bitop3:0x54
	;; [unrolled: 1-line block ×3, first 2 shown]
	s_delay_alu instid0(VALU_DEP_3) | instskip(NEXT) | instid1(VALU_DEP_3)
	v_dual_add_nc_u32 v44, v29, v57 :: v_dual_bitop2_b32 v40, v31, v47 bitop3:0x54
	v_or_b32_e32 v42, v33, v56
	s_delay_alu instid0(VALU_DEP_3) | instskip(SKIP_1) | instid1(VALU_DEP_4)
	v_or_b32_e32 v37, v35, v47
	v_mul_lo_u32 v60, v29, s38
	v_cmp_lt_i32_e64 s11, -1, v40
	v_add_nc_u32_e32 v40, v29, v58
	v_or_b32_e32 v74, v31, v54
	v_cmp_lt_i32_e64 s9, -1, v37
	v_dual_ashrrev_i32 v31, 31, v30 :: v_dual_bitop2_b32 v37, v31, v56 bitop3:0x54
	v_cmp_lt_i32_e64 s13, -1, v42
	v_mul_lo_u32 v75, v61, s94
	v_add_nc_u32_e32 v42, v29, v55
	v_cmp_gt_i32_e64 s8, s51, v29
	v_dual_add_nc_u32 v34, v29, v59 :: v_dual_add_nc_u32 v36, v29, v62
	v_dual_add_nc_u32 v38, v29, v63 :: v_dual_bitop2_b32 v41, v35, v56 bitop3:0x54
	v_dual_ashrrev_i32 v29, 31, v28 :: v_dual_bitop2_b32 v39, v33, v47 bitop3:0x54
	v_or_b32_e32 v65, v33, v54
	v_dual_ashrrev_i32 v43, 31, v42 :: v_dual_sub_nc_u32 v0, v0, v75
	s_and_b32 s24, s8, s19
	s_delay_alu instid0(VALU_DEP_3)
	v_cmp_lt_i32_e64 s10, -1, v39
	v_cmp_lt_i32_e64 s14, -1, v37
	v_dual_ashrrev_i32 v37, 31, v36 :: v_dual_ashrrev_i32 v39, 31, v38
	v_cmp_lt_i32_e64 s15, -1, v65
	v_add_nc_u32_e32 v65, 1, v61
	v_cmp_eq_u32_e64 s21, v60, v46
	s_and_b32 s29, s24, s11
	v_subrev_nc_u32_e32 v46, s94, v0
	v_cmp_le_u32_e64 s11, s94, v0
	s_and_b32 s71, s24, s14
	v_dual_ashrrev_i32 v33, 31, v32 :: v_dual_bitop2_b32 v45, v35, v54 bitop3:0x54
	v_cmp_lt_i32_e64 s12, -1, v41
	v_dual_cndmask_b32 v60, v61, v65, s11 :: v_dual_cndmask_b32 v0, v0, v46, s11
	v_ashrrev_i32_e32 v41, 31, v40
	v_cmp_lt_i32_e64 s16, -1, v74
	s_and_b32 s22, s8, s18
	v_add_nc_u32_e32 v46, 1, v60
	v_cmp_le_u32_e64 s14, s94, v0
	s_and_b32 s23, s8, s20
	v_cmp_lt_i32_e64 s8, -1, v45
	s_and_b32 s25, s22, s9
	s_and_b32 s26, s23, s10
	v_cndmask_b32_e64 v0, v60, v46, s14
	s_and_b32 s44, s22, s12
	s_and_b32 s63, s23, s13
	;; [unrolled: 1-line block ×4, first 2 shown]
	v_xor_b32_e32 v0, v0, v48
	s_and_b32 s24, s24, s16
	s_and_b32 s8, s62, s21
	;; [unrolled: 1-line block ×4, first 2 shown]
	v_sub_nc_u32_e32 v0, v0, v48
	s_and_b32 s11, s68, s21
	s_and_b32 s12, s69, s21
	;; [unrolled: 1-line block ×4, first 2 shown]
	v_or_b32_e32 v49, v0, v49
	s_and_b32 s15, s90, s21
	s_and_b32 s16, s92, s21
	s_and_b32 s65, s26, s17
	s_and_b32 s64, s25, s17
	v_or_b32_e32 v74, v49, v54
	v_dual_add_nc_u32 v46, v0, v50 :: v_dual_bitop2_b32 v5, v0, v5 bitop3:0x54
	v_dual_add_nc_u32 v48, v0, v53 :: v_dual_bitop2_b32 v52, v0, v52 bitop3:0x54
	v_mul_lo_u32 v65, v0, s38
	s_delay_alu instid0(VALU_DEP_3) | instskip(NEXT) | instid1(VALU_DEP_3)
	v_dual_add_nc_u32 v50, v0, v51 :: v_dual_bitop2_b32 v76, v5, v54 bitop3:0x54
	v_or_b32_e32 v60, v52, v56
	v_cmp_gt_i32_e64 s21, s51, v0
	v_or_b32_e32 v53, v49, v56
	v_or_b32_e32 v49, v49, v47
	;; [unrolled: 1-line block ×4, first 2 shown]
	v_dual_add_nc_u32 v52, v0, v59 :: v_dual_bitop2_b32 v77, v5, v56 bitop3:0x54
	v_dual_add_nc_u32 v58, v0, v58 :: v_dual_bitop2_b32 v5, v5, v47 bitop3:0x54
	v_dual_add_nc_u32 v54, v0, v62 :: v_dual_add_nc_u32 v56, v0, v63
	v_dual_add_nc_u32 v62, v0, v57 :: v_dual_ashrrev_i32 v51, 31, v50
	v_cmp_lt_i32_e64 s26, -1, v60
	s_delay_alu instid0(VALU_DEP_3)
	v_dual_add_nc_u32 v60, v0, v55 :: v_dual_ashrrev_i32 v55, 31, v54
	s_and_b32 s84, s44, s28
	s_and_b32 s88, s63, s28
	s_and_b32 s80, s71, s28
	s_and_b32 s63, s22, s27
	s_and_b32 s44, s23, s27
	s_and_b32 s82, s24, s27
	v_cmp_lt_i32_e64 s22, -1, v49
	v_cmp_lt_i32_e64 s24, -1, v5
	;; [unrolled: 1-line block ×3, first 2 shown]
	s_and_b32 s71, s21, s18
	s_and_b32 s72, s21, s20
	;; [unrolled: 1-line block ×3, first 2 shown]
	v_ashrrev_i32_e32 v49, 31, v48
	v_ashrrev_i32_e32 v53, 31, v52
	v_cmp_lt_i32_e64 s23, -1, v61
	v_cmp_lt_i32_e64 s18, -1, v74
	;; [unrolled: 1-line block ×5, first 2 shown]
	s_and_b32 s83, s29, s17
	v_cmp_eq_u32_e64 s29, v65, v64
	v_dual_ashrrev_i32 v35, 31, v34 :: v_dual_ashrrev_i32 v45, 31, v44
	v_dual_ashrrev_i32 v47, 31, v46 :: v_dual_ashrrev_i32 v57, 31, v56
	;; [unrolled: 1-line block ×3, first 2 shown]
	v_ashrrev_i32_e32 v63, 31, v62
	s_and_b32 s34, s71, s22
	s_and_b32 s35, s71, s25
	;; [unrolled: 1-line block ×27, first 2 shown]
	s_branch .LBB20_7
.LBB20_6:                               ;   in Loop: Header=BB20_7 Depth=2
	s_wait_xcnt 0x0
	s_or_b32 exec_lo, exec_lo, s17
	s_wait_loadcnt 0x1a
	v_dual_fma_f32 v0, v0, v5, v72 :: v_dual_add_nc_u32 v71, 1, v71
	v_add_nc_u64_e32 v[8:9], 0x6c, v[8:9]
	v_add_nc_u32_e32 v4, s61, v4
	s_delay_alu instid0(VALU_DEP_3) | instskip(NEXT) | instid1(VALU_DEP_4)
	v_cndmask_b32_e32 v0, v72, v0, vcc_lo
	v_cmp_ge_i32_e64 s17, v71, v73
	s_wait_loadcnt 0x19
	s_delay_alu instid0(VALU_DEP_2) | instskip(SKIP_1) | instid1(VALU_DEP_1)
	v_fma_f32 v5, v74, v76, v0
	s_or_b32 s99, s17, s99
	v_cndmask_b32_e64 v0, v0, v5, s8
	s_wait_loadcnt 0x18
	s_delay_alu instid0(VALU_DEP_1) | instskip(NEXT) | instid1(VALU_DEP_1)
	v_fma_f32 v5, v77, v75, v0
	v_cndmask_b32_e64 v0, v0, v5, s18
	s_wait_loadcnt 0x17
	s_delay_alu instid0(VALU_DEP_1) | instskip(NEXT) | instid1(VALU_DEP_1)
	v_fma_f32 v5, v78, v80, v0
	;; [unrolled: 4-line block ×25, first 2 shown]
	v_cndmask_b32_e64 v72, v0, v5, s26
	s_and_not1_b32 exec_lo, exec_lo, s99
	s_cbranch_execz .LBB20_2
.LBB20_7:                               ;   Parent Loop BB20_4 Depth=1
                                        ; =>  This Inner Loop Header: Depth=2
	global_load_b32 v0, v[8:9], off
	v_ashrrev_i32_e32 v5, 31, v4
	s_delay_alu instid0(VALU_DEP_1)
	v_lshl_add_u64 v[64:65], v[4:5], 2, v[6:7]
	v_mov_b32_e32 v5, 0
	s_wait_xcnt 0x0
	s_and_saveexec_b32 s17, s100
	s_cbranch_execz .LBB20_9
; %bb.8:                                ;   in Loop: Header=BB20_7 Depth=2
	v_lshl_add_u64 v[74:75], v[10:11], 2, v[64:65]
	global_load_b32 v5, v[74:75], off
.LBB20_9:                               ;   in Loop: Header=BB20_7 Depth=2
	s_wait_xcnt 0x0
	s_or_b32 exec_lo, exec_lo, s17
	global_load_b32 v74, v[8:9], off offset:4
	v_dual_mov_b32 v75, 0 :: v_dual_mov_b32 v76, 0
	s_wait_xcnt 0x0
	s_and_saveexec_b32 s17, s64
	s_cbranch_execz .LBB20_11
; %bb.10:                               ;   in Loop: Header=BB20_7 Depth=2
	v_lshl_add_u64 v[76:77], v[28:29], 2, v[64:65]
	global_load_b32 v76, v[76:77], off
.LBB20_11:                              ;   in Loop: Header=BB20_7 Depth=2
	s_wait_xcnt 0x0
	s_or_b32 exec_lo, exec_lo, s17
	global_load_b32 v77, v[8:9], off offset:8
	s_wait_xcnt 0x0
	s_and_saveexec_b32 s17, s29
	s_cbranch_execz .LBB20_13
; %bb.12:                               ;   in Loop: Header=BB20_7 Depth=2
	v_lshl_add_u64 v[78:79], v[46:47], 2, v[64:65]
	global_load_b32 v75, v[78:79], off
.LBB20_13:                              ;   in Loop: Header=BB20_7 Depth=2
	s_wait_xcnt 0x0
	s_or_b32 exec_lo, exec_lo, s17
	global_load_b32 v78, v[8:9], off offset:12
	v_dual_mov_b32 v79, 0 :: v_dual_mov_b32 v80, 0
	s_wait_xcnt 0x0
	s_and_saveexec_b32 s17, s102
	s_cbranch_execz .LBB20_15
; %bb.14:                               ;   in Loop: Header=BB20_7 Depth=2
	v_lshl_add_u64 v[80:81], v[14:15], 2, v[64:65]
	global_load_b32 v80, v[80:81], off
.LBB20_15:                              ;   in Loop: Header=BB20_7 Depth=2
	s_wait_xcnt 0x0
	s_or_b32 exec_lo, exec_lo, s17
	global_load_b32 v81, v[8:9], off offset:16
	s_wait_xcnt 0x0
	s_and_saveexec_b32 s17, s65
	s_cbranch_execz .LBB20_17
; %bb.16:                               ;   in Loop: Header=BB20_7 Depth=2
	v_lshl_add_u64 v[82:83], v[30:31], 2, v[64:65]
	global_load_b32 v79, v[82:83], off
.LBB20_17:                              ;   in Loop: Header=BB20_7 Depth=2
	;; [unrolled: 21-line block ×11, first 2 shown]
	s_wait_xcnt 0x0
	s_or_b32 exec_lo, exec_lo, s17
	global_load_b32 v118, v[8:9], off offset:92
	v_dual_mov_b32 v119, 0 :: v_dual_mov_b32 v120, 0
	s_wait_xcnt 0x0
	s_and_saveexec_b32 s17, s67
	s_cbranch_execz .LBB20_55
; %bb.54:                               ;   in Loop: Header=BB20_7 Depth=2
	v_lshl_add_u64 v[120:121], v[60:61], 2, v[64:65]
	global_load_b32 v120, v[120:121], off
.LBB20_55:                              ;   in Loop: Header=BB20_7 Depth=2
	s_wait_xcnt 0x0
	s_or_b32 exec_lo, exec_lo, s17
	global_load_b32 v121, v[8:9], off offset:96
	s_wait_xcnt 0x0
	s_and_saveexec_b32 s17, vcc_hi
	s_cbranch_execz .LBB20_57
; %bb.56:                               ;   in Loop: Header=BB20_7 Depth=2
	v_lshl_add_u64 v[122:123], v[20:21], 2, v[64:65]
	global_load_b32 v119, v[122:123], off
.LBB20_57:                              ;   in Loop: Header=BB20_7 Depth=2
	s_wait_xcnt 0x0
	s_or_b32 exec_lo, exec_lo, s17
	global_load_b32 v123, v[8:9], off offset:100
	v_dual_mov_b32 v122, 0 :: v_dual_mov_b32 v124, 0
	s_wait_xcnt 0x0
	s_and_saveexec_b32 s17, s82
	s_cbranch_execz .LBB20_59
; %bb.58:                               ;   in Loop: Header=BB20_7 Depth=2
	v_lshl_add_u64 v[124:125], v[44:45], 2, v[64:65]
	global_load_b32 v124, v[124:125], off
.LBB20_59:                              ;   in Loop: Header=BB20_7 Depth=2
	s_wait_xcnt 0x0
	s_or_b32 exec_lo, exec_lo, s17
	global_load_b32 v125, v[8:9], off offset:104
	s_wait_xcnt 0x0
	s_and_saveexec_b32 s17, s27
	s_cbranch_execz .LBB20_6
; %bb.60:                               ;   in Loop: Header=BB20_7 Depth=2
	v_lshl_add_u64 v[64:65], v[62:63], 2, v[64:65]
	global_load_b32 v122, v[64:65], off
	s_branch .LBB20_6
.LBB20_61:                              ;   in Loop: Header=BB20_4 Depth=1
	v_mov_b32_e32 v72, 0
	s_branch .LBB20_3
.LBB20_62:
	s_sendmsg sendmsg(MSG_DEALLOC_VGPRS)
	s_endpgm
	.section	.rodata,"a",@progbits
	.p2align	6, 0x0
	.amdhsa_kernel _ZN2at6native12_GLOBAL__N_143conv_depthwise3d_cuda_backward_input_kernelIffLi3ELi3ELi3ELin1ELin1ELin1ELin1ELin1ELin1EEEvN5torch10headeronly6detail27GenericPackedTensorAccessorINS5_14TensorAccessorIN3c108ArrayRefIlEEKT_Lm4ENS4_16DefaultPtrTraitsEiEENS_6detail16IndexBoundsCheckILm5EiEESC_Lm5ESD_iEENS6_INS7_ISA_SB_Lm4ESD_iEESH_SB_Lm5ESD_iEESI_iiiiiiiii
		.amdhsa_group_segment_fixed_size 0
		.amdhsa_private_segment_fixed_size 0
		.amdhsa_kernarg_size 440
		.amdhsa_user_sgpr_count 2
		.amdhsa_user_sgpr_dispatch_ptr 0
		.amdhsa_user_sgpr_queue_ptr 0
		.amdhsa_user_sgpr_kernarg_segment_ptr 1
		.amdhsa_user_sgpr_dispatch_id 0
		.amdhsa_user_sgpr_kernarg_preload_length 0
		.amdhsa_user_sgpr_kernarg_preload_offset 0
		.amdhsa_user_sgpr_private_segment_size 0
		.amdhsa_wavefront_size32 1
		.amdhsa_uses_dynamic_stack 0
		.amdhsa_enable_private_segment 0
		.amdhsa_system_sgpr_workgroup_id_x 1
		.amdhsa_system_sgpr_workgroup_id_y 0
		.amdhsa_system_sgpr_workgroup_id_z 0
		.amdhsa_system_sgpr_workgroup_info 0
		.amdhsa_system_vgpr_workitem_id 0
		.amdhsa_next_free_vgpr 127
		.amdhsa_next_free_sgpr 105
		.amdhsa_named_barrier_count 0
		.amdhsa_reserve_vcc 1
		.amdhsa_float_round_mode_32 0
		.amdhsa_float_round_mode_16_64 0
		.amdhsa_float_denorm_mode_32 3
		.amdhsa_float_denorm_mode_16_64 3
		.amdhsa_fp16_overflow 0
		.amdhsa_memory_ordered 1
		.amdhsa_forward_progress 1
		.amdhsa_inst_pref_size 53
		.amdhsa_round_robin_scheduling 0
		.amdhsa_exception_fp_ieee_invalid_op 0
		.amdhsa_exception_fp_denorm_src 0
		.amdhsa_exception_fp_ieee_div_zero 0
		.amdhsa_exception_fp_ieee_overflow 0
		.amdhsa_exception_fp_ieee_underflow 0
		.amdhsa_exception_fp_ieee_inexact 0
		.amdhsa_exception_int_div_zero 0
	.end_amdhsa_kernel
	.section	.text._ZN2at6native12_GLOBAL__N_143conv_depthwise3d_cuda_backward_input_kernelIffLi3ELi3ELi3ELin1ELin1ELin1ELin1ELin1ELin1EEEvN5torch10headeronly6detail27GenericPackedTensorAccessorINS5_14TensorAccessorIN3c108ArrayRefIlEEKT_Lm4ENS4_16DefaultPtrTraitsEiEENS_6detail16IndexBoundsCheckILm5EiEESC_Lm5ESD_iEENS6_INS7_ISA_SB_Lm4ESD_iEESH_SB_Lm5ESD_iEESI_iiiiiiiii,"axG",@progbits,_ZN2at6native12_GLOBAL__N_143conv_depthwise3d_cuda_backward_input_kernelIffLi3ELi3ELi3ELin1ELin1ELin1ELin1ELin1ELin1EEEvN5torch10headeronly6detail27GenericPackedTensorAccessorINS5_14TensorAccessorIN3c108ArrayRefIlEEKT_Lm4ENS4_16DefaultPtrTraitsEiEENS_6detail16IndexBoundsCheckILm5EiEESC_Lm5ESD_iEENS6_INS7_ISA_SB_Lm4ESD_iEESH_SB_Lm5ESD_iEESI_iiiiiiiii,comdat
.Lfunc_end20:
	.size	_ZN2at6native12_GLOBAL__N_143conv_depthwise3d_cuda_backward_input_kernelIffLi3ELi3ELi3ELin1ELin1ELin1ELin1ELin1ELin1EEEvN5torch10headeronly6detail27GenericPackedTensorAccessorINS5_14TensorAccessorIN3c108ArrayRefIlEEKT_Lm4ENS4_16DefaultPtrTraitsEiEENS_6detail16IndexBoundsCheckILm5EiEESC_Lm5ESD_iEENS6_INS7_ISA_SB_Lm4ESD_iEESH_SB_Lm5ESD_iEESI_iiiiiiiii, .Lfunc_end20-_ZN2at6native12_GLOBAL__N_143conv_depthwise3d_cuda_backward_input_kernelIffLi3ELi3ELi3ELin1ELin1ELin1ELin1ELin1ELin1EEEvN5torch10headeronly6detail27GenericPackedTensorAccessorINS5_14TensorAccessorIN3c108ArrayRefIlEEKT_Lm4ENS4_16DefaultPtrTraitsEiEENS_6detail16IndexBoundsCheckILm5EiEESC_Lm5ESD_iEENS6_INS7_ISA_SB_Lm4ESD_iEESH_SB_Lm5ESD_iEESI_iiiiiiiii
                                        ; -- End function
	.set _ZN2at6native12_GLOBAL__N_143conv_depthwise3d_cuda_backward_input_kernelIffLi3ELi3ELi3ELin1ELin1ELin1ELin1ELin1ELin1EEEvN5torch10headeronly6detail27GenericPackedTensorAccessorINS5_14TensorAccessorIN3c108ArrayRefIlEEKT_Lm4ENS4_16DefaultPtrTraitsEiEENS_6detail16IndexBoundsCheckILm5EiEESC_Lm5ESD_iEENS6_INS7_ISA_SB_Lm4ESD_iEESH_SB_Lm5ESD_iEESI_iiiiiiiii.num_vgpr, 127
	.set _ZN2at6native12_GLOBAL__N_143conv_depthwise3d_cuda_backward_input_kernelIffLi3ELi3ELi3ELin1ELin1ELin1ELin1ELin1ELin1EEEvN5torch10headeronly6detail27GenericPackedTensorAccessorINS5_14TensorAccessorIN3c108ArrayRefIlEEKT_Lm4ENS4_16DefaultPtrTraitsEiEENS_6detail16IndexBoundsCheckILm5EiEESC_Lm5ESD_iEENS6_INS7_ISA_SB_Lm4ESD_iEESH_SB_Lm5ESD_iEESI_iiiiiiiii.num_agpr, 0
	.set _ZN2at6native12_GLOBAL__N_143conv_depthwise3d_cuda_backward_input_kernelIffLi3ELi3ELi3ELin1ELin1ELin1ELin1ELin1ELin1EEEvN5torch10headeronly6detail27GenericPackedTensorAccessorINS5_14TensorAccessorIN3c108ArrayRefIlEEKT_Lm4ENS4_16DefaultPtrTraitsEiEENS_6detail16IndexBoundsCheckILm5EiEESC_Lm5ESD_iEENS6_INS7_ISA_SB_Lm4ESD_iEESH_SB_Lm5ESD_iEESI_iiiiiiiii.numbered_sgpr, 105
	.set _ZN2at6native12_GLOBAL__N_143conv_depthwise3d_cuda_backward_input_kernelIffLi3ELi3ELi3ELin1ELin1ELin1ELin1ELin1ELin1EEEvN5torch10headeronly6detail27GenericPackedTensorAccessorINS5_14TensorAccessorIN3c108ArrayRefIlEEKT_Lm4ENS4_16DefaultPtrTraitsEiEENS_6detail16IndexBoundsCheckILm5EiEESC_Lm5ESD_iEENS6_INS7_ISA_SB_Lm4ESD_iEESH_SB_Lm5ESD_iEESI_iiiiiiiii.num_named_barrier, 0
	.set _ZN2at6native12_GLOBAL__N_143conv_depthwise3d_cuda_backward_input_kernelIffLi3ELi3ELi3ELin1ELin1ELin1ELin1ELin1ELin1EEEvN5torch10headeronly6detail27GenericPackedTensorAccessorINS5_14TensorAccessorIN3c108ArrayRefIlEEKT_Lm4ENS4_16DefaultPtrTraitsEiEENS_6detail16IndexBoundsCheckILm5EiEESC_Lm5ESD_iEENS6_INS7_ISA_SB_Lm4ESD_iEESH_SB_Lm5ESD_iEESI_iiiiiiiii.private_seg_size, 0
	.set _ZN2at6native12_GLOBAL__N_143conv_depthwise3d_cuda_backward_input_kernelIffLi3ELi3ELi3ELin1ELin1ELin1ELin1ELin1ELin1EEEvN5torch10headeronly6detail27GenericPackedTensorAccessorINS5_14TensorAccessorIN3c108ArrayRefIlEEKT_Lm4ENS4_16DefaultPtrTraitsEiEENS_6detail16IndexBoundsCheckILm5EiEESC_Lm5ESD_iEENS6_INS7_ISA_SB_Lm4ESD_iEESH_SB_Lm5ESD_iEESI_iiiiiiiii.uses_vcc, 1
	.set _ZN2at6native12_GLOBAL__N_143conv_depthwise3d_cuda_backward_input_kernelIffLi3ELi3ELi3ELin1ELin1ELin1ELin1ELin1ELin1EEEvN5torch10headeronly6detail27GenericPackedTensorAccessorINS5_14TensorAccessorIN3c108ArrayRefIlEEKT_Lm4ENS4_16DefaultPtrTraitsEiEENS_6detail16IndexBoundsCheckILm5EiEESC_Lm5ESD_iEENS6_INS7_ISA_SB_Lm4ESD_iEESH_SB_Lm5ESD_iEESI_iiiiiiiii.uses_flat_scratch, 0
	.set _ZN2at6native12_GLOBAL__N_143conv_depthwise3d_cuda_backward_input_kernelIffLi3ELi3ELi3ELin1ELin1ELin1ELin1ELin1ELin1EEEvN5torch10headeronly6detail27GenericPackedTensorAccessorINS5_14TensorAccessorIN3c108ArrayRefIlEEKT_Lm4ENS4_16DefaultPtrTraitsEiEENS_6detail16IndexBoundsCheckILm5EiEESC_Lm5ESD_iEENS6_INS7_ISA_SB_Lm4ESD_iEESH_SB_Lm5ESD_iEESI_iiiiiiiii.has_dyn_sized_stack, 0
	.set _ZN2at6native12_GLOBAL__N_143conv_depthwise3d_cuda_backward_input_kernelIffLi3ELi3ELi3ELin1ELin1ELin1ELin1ELin1ELin1EEEvN5torch10headeronly6detail27GenericPackedTensorAccessorINS5_14TensorAccessorIN3c108ArrayRefIlEEKT_Lm4ENS4_16DefaultPtrTraitsEiEENS_6detail16IndexBoundsCheckILm5EiEESC_Lm5ESD_iEENS6_INS7_ISA_SB_Lm4ESD_iEESH_SB_Lm5ESD_iEESI_iiiiiiiii.has_recursion, 0
	.set _ZN2at6native12_GLOBAL__N_143conv_depthwise3d_cuda_backward_input_kernelIffLi3ELi3ELi3ELin1ELin1ELin1ELin1ELin1ELin1EEEvN5torch10headeronly6detail27GenericPackedTensorAccessorINS5_14TensorAccessorIN3c108ArrayRefIlEEKT_Lm4ENS4_16DefaultPtrTraitsEiEENS_6detail16IndexBoundsCheckILm5EiEESC_Lm5ESD_iEENS6_INS7_ISA_SB_Lm4ESD_iEESH_SB_Lm5ESD_iEESI_iiiiiiiii.has_indirect_call, 0
	.section	.AMDGPU.csdata,"",@progbits
; Kernel info:
; codeLenInByte = 6716
; TotalNumSgprs: 107
; NumVgprs: 127
; ScratchSize: 0
; MemoryBound: 0
; FloatMode: 240
; IeeeMode: 1
; LDSByteSize: 0 bytes/workgroup (compile time only)
; SGPRBlocks: 0
; VGPRBlocks: 7
; NumSGPRsForWavesPerEU: 107
; NumVGPRsForWavesPerEU: 127
; NamedBarCnt: 0
; Occupancy: 8
; WaveLimiterHint : 0
; COMPUTE_PGM_RSRC2:SCRATCH_EN: 0
; COMPUTE_PGM_RSRC2:USER_SGPR: 2
; COMPUTE_PGM_RSRC2:TRAP_HANDLER: 0
; COMPUTE_PGM_RSRC2:TGID_X_EN: 1
; COMPUTE_PGM_RSRC2:TGID_Y_EN: 0
; COMPUTE_PGM_RSRC2:TGID_Z_EN: 0
; COMPUTE_PGM_RSRC2:TIDIG_COMP_CNT: 0
	.section	.text._ZN2at6native12_GLOBAL__N_143conv_depthwise3d_cuda_backward_input_kernelIffLin1ELin1ELin1ELin1ELin1ELin1ELin1ELin1ELin1EEEvN5torch10headeronly6detail27GenericPackedTensorAccessorINS5_14TensorAccessorIN3c108ArrayRefIlEEKT_Lm4ENS4_16DefaultPtrTraitsEiEENS_6detail16IndexBoundsCheckILm5EiEESC_Lm5ESD_iEENS6_INS7_ISA_SB_Lm4ESD_iEESH_SB_Lm5ESD_iEESI_iiiiiiiii,"axG",@progbits,_ZN2at6native12_GLOBAL__N_143conv_depthwise3d_cuda_backward_input_kernelIffLin1ELin1ELin1ELin1ELin1ELin1ELin1ELin1ELin1EEEvN5torch10headeronly6detail27GenericPackedTensorAccessorINS5_14TensorAccessorIN3c108ArrayRefIlEEKT_Lm4ENS4_16DefaultPtrTraitsEiEENS_6detail16IndexBoundsCheckILm5EiEESC_Lm5ESD_iEENS6_INS7_ISA_SB_Lm4ESD_iEESH_SB_Lm5ESD_iEESI_iiiiiiiii,comdat
	.globl	_ZN2at6native12_GLOBAL__N_143conv_depthwise3d_cuda_backward_input_kernelIffLin1ELin1ELin1ELin1ELin1ELin1ELin1ELin1ELin1EEEvN5torch10headeronly6detail27GenericPackedTensorAccessorINS5_14TensorAccessorIN3c108ArrayRefIlEEKT_Lm4ENS4_16DefaultPtrTraitsEiEENS_6detail16IndexBoundsCheckILm5EiEESC_Lm5ESD_iEENS6_INS7_ISA_SB_Lm4ESD_iEESH_SB_Lm5ESD_iEESI_iiiiiiiii ; -- Begin function _ZN2at6native12_GLOBAL__N_143conv_depthwise3d_cuda_backward_input_kernelIffLin1ELin1ELin1ELin1ELin1ELin1ELin1ELin1ELin1EEEvN5torch10headeronly6detail27GenericPackedTensorAccessorINS5_14TensorAccessorIN3c108ArrayRefIlEEKT_Lm4ENS4_16DefaultPtrTraitsEiEENS_6detail16IndexBoundsCheckILm5EiEESC_Lm5ESD_iEENS6_INS7_ISA_SB_Lm4ESD_iEESH_SB_Lm5ESD_iEESI_iiiiiiiii
	.p2align	8
	.type	_ZN2at6native12_GLOBAL__N_143conv_depthwise3d_cuda_backward_input_kernelIffLin1ELin1ELin1ELin1ELin1ELin1ELin1ELin1ELin1EEEvN5torch10headeronly6detail27GenericPackedTensorAccessorINS5_14TensorAccessorIN3c108ArrayRefIlEEKT_Lm4ENS4_16DefaultPtrTraitsEiEENS_6detail16IndexBoundsCheckILm5EiEESC_Lm5ESD_iEENS6_INS7_ISA_SB_Lm4ESD_iEESH_SB_Lm5ESD_iEESI_iiiiiiiii,@function
_ZN2at6native12_GLOBAL__N_143conv_depthwise3d_cuda_backward_input_kernelIffLin1ELin1ELin1ELin1ELin1ELin1ELin1ELin1ELin1EEEvN5torch10headeronly6detail27GenericPackedTensorAccessorINS5_14TensorAccessorIN3c108ArrayRefIlEEKT_Lm4ENS4_16DefaultPtrTraitsEiEENS_6detail16IndexBoundsCheckILm5EiEESC_Lm5ESD_iEENS6_INS7_ISA_SB_Lm4ESD_iEESH_SB_Lm5ESD_iEESI_iiiiiiiii: ; @_ZN2at6native12_GLOBAL__N_143conv_depthwise3d_cuda_backward_input_kernelIffLin1ELin1ELin1ELin1ELin1ELin1ELin1ELin1ELin1EEEvN5torch10headeronly6detail27GenericPackedTensorAccessorINS5_14TensorAccessorIN3c108ArrayRefIlEEKT_Lm4ENS4_16DefaultPtrTraitsEiEENS_6detail16IndexBoundsCheckILm5EiEESC_Lm5ESD_iEENS6_INS7_ISA_SB_Lm4ESD_iEESH_SB_Lm5ESD_iEESI_iiiiiiiii
; %bb.0:
	s_clause 0x1
	s_load_b128 s[16:19], s[0:1], 0x38
	s_load_b32 s2, s[0:1], 0xc4
	s_bfe_u32 s3, ttmp6, 0x4000c
	s_load_b64 s[6:7], s[0:1], 0x48
	s_add_co_i32 s3, s3, 1
	s_and_b32 s4, ttmp6, 15
	s_mul_i32 s3, ttmp9, s3
	s_getreg_b32 s5, hwreg(HW_REG_IB_STS2, 6, 4)
	v_mov_b32_e32 v1, 0
	s_add_co_i32 s4, s4, s3
	s_mov_b32 s37, 0
	s_wait_kmcnt 0x0
	s_abs_i32 s33, s17
	s_and_b32 s2, s2, 0xffff
	s_cmp_eq_u32 s5, 0
	s_mul_i32 s34, s7, s16
	s_cselect_b32 s3, ttmp9, s4
	s_ashr_i32 s35, s34, 31
	v_mad_nc_u64_u32 v[2:3], s2, s3, v[0:1]
	s_cvt_f32_u32 s3, s33
	s_mov_b32 s4, exec_lo
	s_delay_alu instid0(SALU_CYCLE_2) | instskip(SKIP_1) | instid1(TRANS32_DEP_1)
	v_rcp_iflag_f32_e32 v0, s3
	v_nop
	v_readfirstlane_b32 s3, v0
	s_delay_alu instid0(VALU_DEP_3)
	v_cmpx_gt_i64_e64 s[34:35], v[2:3]
	s_cbranch_execz .LBB21_19
; %bb.1:
	s_clause 0x1
	s_load_b128 s[20:23], s[0:1], 0xc
	s_load_b64 s[38:39], s[0:1], 0x0
	s_mul_f32 s3, s3, 0x4f7ffffe
	s_sub_co_i32 s52, 0, s33
	s_mov_b32 s5, s37
	s_load_b128 s[24:27], s[0:1], 0x70
	s_cvt_u32_f32 s3, s3
	s_ashr_i32 s16, s17, 31
	s_add_nc_u64 s[28:29], s[0:1], 0xb8
	s_clause 0x1
	s_load_b64 s[40:41], s[0:1], 0x1c
	s_load_b64 s[42:43], s[0:1], 0x30
	s_mul_i32 s4, s52, s3
	s_load_b256 s[8:15], s[0:1], 0x90
	s_mul_hi_u32 s4, s3, s4
	s_mov_b32 s47, s37
	s_add_co_i32 s4, s3, s4
	s_mov_b32 s49, s37
	s_mov_b32 s51, s37
	;; [unrolled: 1-line block ×5, first 2 shown]
	s_wait_kmcnt 0x0
	s_abs_i32 s36, s20
	s_ashr_i32 s3, s20, 31
	s_mul_u64 s[4:5], s[36:37], s[4:5]
	s_xor_b32 s3, s3, s16
	s_mul_i32 s4, s5, s33
	s_add_co_i32 s30, s5, 1
	s_sub_co_i32 s4, s36, s4
	s_load_b32 s20, s[0:1], 0xb0
	s_sub_co_i32 s31, s4, s33
	s_cmp_ge_u32 s4, s33
	s_mov_b32 s59, s37
	s_cselect_b32 s5, s30, s5
	s_cselect_b32 s4, s31, s4
	s_add_co_i32 s30, s5, 1
	s_cmp_ge_u32 s4, s33
	s_mov_b32 s77, s37
	s_cselect_b32 s4, s30, s5
	s_load_b32 s5, s[28:29], 0x0
	s_xor_b32 s4, s4, s3
	s_load_b64 s[44:45], s[0:1], 0x60
	s_wait_xcnt 0x0
	s_load_b128 s[28:31], s[0:1], 0x50
	s_sub_co_i32 s60, s4, s3
	s_cmp_gt_i32 s24, 0
	s_wait_xcnt 0x0
	v_readfirstlane_b32 s0, v0
	s_cselect_b32 s61, -1, 0
	s_cmp_gt_i32 s25, 0
	s_cselect_b32 s62, -1, 0
	s_cmp_gt_i32 s26, 0
	s_mul_f32 s0, s0, 0x4f7ffffe
	s_cselect_b32 s63, -1, 0
	s_cmp_gt_i32 s60, 0
	s_cselect_b32 s64, -1, 0
	s_abs_i32 s66, s19
	s_abs_i32 s65, s6
	s_cvt_f32_u32 s3, s66
	s_cvt_f32_u32 s1, s65
	s_abs_i32 s67, s18
	s_wait_kmcnt 0x0
	s_mul_i32 s36, s5, s2
	v_rcp_iflag_f32_e32 v4, s3
	v_rcp_iflag_f32_e32 v0, s1
	s_cvt_f32_u32 s2, s67
	s_abs_i32 s70, s8
	s_sub_co_i32 s4, 0, s66
	s_cvt_f32_u32 s46, s70
	v_rcp_iflag_f32_e32 v5, s2
	v_readfirstlane_b32 s3, v4
	v_readfirstlane_b32 s2, v0
	v_rcp_iflag_f32_e32 v0, s46
	s_sub_co_i32 s1, 0, s65
	s_abs_i32 s72, s9
	s_mul_f32 s3, s3, 0x4f7ffffe
	v_readfirstlane_b32 s5, v5
	s_mul_f32 s2, s2, 0x4f7ffffe
	s_sub_co_i32 s50, 0, s67
	s_cvt_u32_f32 s3, s3
	s_cvt_u32_f32 s0, s0
	;; [unrolled: 1-line block ×3, first 2 shown]
	s_mul_f32 s5, s5, 0x4f7ffffe
	s_mul_i32 s4, s4, s3
	s_abs_i32 s73, s10
	s_mul_i32 s1, s1, s2
	s_mul_hi_u32 s4, s3, s4
	s_cvt_u32_f32 s5, s5
	s_mul_hi_u32 s1, s2, s1
	s_add_co_i32 s48, s3, s4
	s_cvt_f32_u32 s3, s72
	s_add_co_i32 s46, s2, s1
	v_readfirstlane_b32 s2, v0
	s_mul_i32 s50, s50, s5
	v_rcp_iflag_f32_e32 v0, s3
	s_mul_hi_u32 s1, s5, s50
	s_mul_i32 s52, s52, s0
	s_add_co_i32 s50, s5, s1
	s_mul_f32 s1, s2, 0x4f7ffffe
	s_cvt_f32_u32 s3, s73
	s_mul_hi_u32 s2, s0, s52
	s_ashr_i32 s68, s6, 31
	s_add_co_i32 s52, s0, s2
	s_cvt_u32_f32 s0, s1
	v_nop
	v_readfirstlane_b32 s1, v0
	v_rcp_iflag_f32_e32 v0, s3
	s_sub_co_i32 s2, 0, s70
	s_ashr_i32 s69, s19, 31
	s_mul_i32 s2, s2, s0
	s_mul_f32 s1, s1, 0x4f7ffffe
	s_mul_hi_u32 s2, s0, s2
	s_ashr_i32 s71, s18, 31
	v_nop
	v_readfirstlane_b32 s3, v0
	s_add_co_i32 s54, s0, s2
	s_cvt_u32_f32 s0, s1
	s_sub_co_i32 s1, 0, s72
	s_ashr_i32 s74, s8, 31
	s_mul_f32 s2, s3, 0x4f7ffffe
	s_mul_i32 s1, s1, s0
	s_ashr_i32 s75, s9, 31
	s_mul_hi_u32 s1, s0, s1
	s_cvt_u32_f32 s2, s2
	s_add_co_i32 s56, s0, s1
	s_sub_co_i32 s0, 0, s73
	s_ashr_i32 s76, s10, 31
	s_mul_i32 s0, s0, s2
	s_delay_alu instid0(SALU_CYCLE_1) | instskip(NEXT) | instid1(SALU_CYCLE_1)
	s_mul_hi_u32 s0, s2, s0
	s_add_co_i32 s58, s2, s0
	s_branch .LBB21_4
.LBB21_2:                               ;   in Loop: Header=BB21_4 Depth=1
	s_or_b32 exec_lo, exec_lo, s78
.LBB21_3:                               ;   in Loop: Header=BB21_4 Depth=1
	v_mul_lo_u32 v4, v14, s7
	v_mul_lo_u32 v6, s28, v15
	;; [unrolled: 1-line block ×5, first 2 shown]
	v_add_nc_u64_e32 v[2:3], s[36:37], v[2:3]
	v_dual_ashrrev_i32 v5, 31, v4 :: v_dual_ashrrev_i32 v7, 31, v6
	s_delay_alu instid0(VALU_DEP_4) | instskip(NEXT) | instid1(VALU_DEP_4)
	v_dual_ashrrev_i32 v9, 31, v8 :: v_dual_ashrrev_i32 v15, 31, v14
	v_ashrrev_i32_e32 v11, 31, v10
	s_delay_alu instid0(VALU_DEP_3) | instskip(SKIP_1) | instid1(VALU_DEP_2)
	v_lshl_add_u64 v[4:5], v[4:5], 2, s[42:43]
	v_cmp_le_i64_e32 vcc_lo, s[34:35], v[2:3]
	v_lshl_add_u64 v[4:5], v[6:7], 2, v[4:5]
	s_or_b32 s77, vcc_lo, s77
	s_delay_alu instid0(VALU_DEP_1) | instskip(NEXT) | instid1(VALU_DEP_1)
	v_lshl_add_u64 v[4:5], v[8:9], 2, v[4:5]
	v_lshl_add_u64 v[4:5], v[14:15], 2, v[4:5]
	s_delay_alu instid0(VALU_DEP_1)
	v_lshl_add_u64 v[4:5], v[10:11], 2, v[4:5]
	global_store_b32 v[4:5], v12, off
	s_wait_xcnt 0x0
	s_and_not1_b32 exec_lo, exec_lo, s77
	s_cbranch_execz .LBB21_19
.LBB21_4:                               ; =>This Loop Header: Depth=1
                                        ;     Child Loop BB21_7 Depth 2
                                        ;       Child Loop BB21_10 Depth 3
                                        ;         Child Loop BB21_13 Depth 4
                                        ;           Child Loop BB21_16 Depth 5
	v_sub_nc_u32_e32 v0, 0, v2
	s_delay_alu instid0(VALU_DEP_1) | instskip(NEXT) | instid1(VALU_DEP_1)
	v_max_i32_e32 v0, v2, v0
	v_mul_u64_e32 v[4:5], s[46:47], v[0:1]
	s_delay_alu instid0(VALU_DEP_1) | instskip(NEXT) | instid1(VALU_DEP_1)
	v_mul_lo_u32 v4, v5, s65
	v_dual_sub_nc_u32 v0, v0, v4 :: v_dual_add_nc_u32 v4, 1, v5
	s_delay_alu instid0(VALU_DEP_1) | instskip(NEXT) | instid1(VALU_DEP_2)
	v_cmp_le_u32_e32 vcc_lo, s65, v0
	v_cndmask_b32_e32 v4, v5, v4, vcc_lo
	v_subrev_nc_u32_e32 v6, s65, v0
	v_ashrrev_i32_e32 v5, 31, v2
	s_delay_alu instid0(VALU_DEP_2) | instskip(NEXT) | instid1(VALU_DEP_1)
	v_dual_cndmask_b32 v0, v0, v6, vcc_lo :: v_dual_add_nc_u32 v6, 1, v4
	v_cmp_le_u32_e32 vcc_lo, s65, v0
	s_delay_alu instid0(VALU_DEP_2) | instskip(NEXT) | instid1(VALU_DEP_1)
	v_dual_cndmask_b32 v0, v4, v6, vcc_lo :: v_dual_bitop2_b32 v5, s68, v5 bitop3:0x14
	v_xor_b32_e32 v0, v0, v5
	s_delay_alu instid0(VALU_DEP_1) | instskip(NEXT) | instid1(VALU_DEP_1)
	v_sub_nc_u32_e32 v6, v0, v5
	v_sub_nc_u32_e32 v0, 0, v6
	s_delay_alu instid0(VALU_DEP_1) | instskip(NEXT) | instid1(VALU_DEP_1)
	v_max_i32_e32 v0, v6, v0
	v_mul_u64_e32 v[4:5], s[48:49], v[0:1]
	s_delay_alu instid0(VALU_DEP_1) | instskip(NEXT) | instid1(VALU_DEP_1)
	v_mul_lo_u32 v4, v5, s66
	v_dual_sub_nc_u32 v0, v0, v4 :: v_dual_add_nc_u32 v4, 1, v5
	s_delay_alu instid0(VALU_DEP_1) | instskip(SKIP_1) | instid1(VALU_DEP_2)
	v_subrev_nc_u32_e32 v7, s66, v0
	v_cmp_le_u32_e32 vcc_lo, s66, v0
	v_dual_cndmask_b32 v4, v5, v4, vcc_lo :: v_dual_cndmask_b32 v0, v0, v7, vcc_lo
	s_delay_alu instid0(VALU_DEP_1) | instskip(NEXT) | instid1(VALU_DEP_2)
	v_dual_ashrrev_i32 v5, 31, v6 :: v_dual_add_nc_u32 v7, 1, v4
	v_cmp_le_u32_e32 vcc_lo, s66, v0
	s_delay_alu instid0(VALU_DEP_2) | instskip(NEXT) | instid1(VALU_DEP_1)
	v_dual_cndmask_b32 v0, v4, v7, vcc_lo :: v_dual_bitop2_b32 v5, s69, v5 bitop3:0x14
	v_xor_b32_e32 v0, v0, v5
	s_delay_alu instid0(VALU_DEP_1) | instskip(NEXT) | instid1(VALU_DEP_1)
	v_sub_nc_u32_e32 v7, v0, v5
	v_sub_nc_u32_e32 v0, 0, v7
	s_delay_alu instid0(VALU_DEP_1) | instskip(NEXT) | instid1(VALU_DEP_1)
	v_max_i32_e32 v0, v7, v0
	v_mul_u64_e32 v[4:5], s[50:51], v[0:1]
	s_delay_alu instid0(VALU_DEP_1) | instskip(NEXT) | instid1(VALU_DEP_1)
	v_mul_lo_u32 v4, v5, s67
	v_dual_sub_nc_u32 v0, v0, v4 :: v_dual_add_nc_u32 v4, 1, v5
	s_delay_alu instid0(VALU_DEP_1) | instskip(SKIP_1) | instid1(VALU_DEP_3)
	v_subrev_nc_u32_e32 v8, s67, v0
	v_cmp_le_u32_e32 vcc_lo, s67, v0
	v_dual_cndmask_b32 v4, v5, v4 :: v_dual_ashrrev_i32 v5, 31, v7
	s_delay_alu instid0(VALU_DEP_1) | instskip(NEXT) | instid1(VALU_DEP_2)
	v_dual_cndmask_b32 v0, v0, v8, vcc_lo :: v_dual_bitop2_b32 v5, s71, v5 bitop3:0x14
	v_add_nc_u32_e32 v8, 1, v4
	s_delay_alu instid0(VALU_DEP_2) | instskip(NEXT) | instid1(VALU_DEP_2)
	v_cmp_le_u32_e32 vcc_lo, s67, v0
	v_cndmask_b32_e32 v0, v4, v8, vcc_lo
	s_delay_alu instid0(VALU_DEP_1) | instskip(NEXT) | instid1(VALU_DEP_1)
	v_xor_b32_e32 v0, v0, v5
	v_sub_nc_u32_e32 v8, v0, v5
	s_delay_alu instid0(VALU_DEP_1) | instskip(NEXT) | instid1(VALU_DEP_1)
	v_sub_nc_u32_e32 v0, 0, v8
	v_max_i32_e32 v0, v8, v0
	s_delay_alu instid0(VALU_DEP_1) | instskip(NEXT) | instid1(VALU_DEP_1)
	v_mul_u64_e32 v[4:5], s[52:53], v[0:1]
	v_mul_lo_u32 v4, v5, s33
	s_delay_alu instid0(VALU_DEP_1) | instskip(NEXT) | instid1(VALU_DEP_1)
	v_dual_sub_nc_u32 v0, v0, v4 :: v_dual_add_nc_u32 v4, 1, v5
	v_subrev_nc_u32_e32 v9, s33, v0
	v_cmp_le_u32_e32 vcc_lo, s33, v0
	s_delay_alu instid0(VALU_DEP_2) | instskip(SKIP_1) | instid1(VALU_DEP_2)
	v_dual_cndmask_b32 v4, v5, v4, vcc_lo :: v_dual_cndmask_b32 v0, v0, v9, vcc_lo
	v_ashrrev_i32_e32 v5, 31, v8
	v_add_nc_u32_e32 v9, 1, v4
	s_delay_alu instid0(VALU_DEP_3) | instskip(NEXT) | instid1(VALU_DEP_3)
	v_cmp_le_u32_e32 vcc_lo, s33, v0
	v_xor_b32_e32 v5, s16, v5
	s_delay_alu instid0(VALU_DEP_3) | instskip(SKIP_2) | instid1(VALU_DEP_1)
	v_cndmask_b32_e32 v0, v4, v9, vcc_lo
	v_mul_lo_u32 v4, v7, s19
	s_and_not1_b32 vcc_lo, exec_lo, s64
	v_dual_sub_nc_u32 v11, v6, v4 :: v_dual_bitop2_b32 v0, v0, v5 bitop3:0x14
	s_delay_alu instid0(VALU_DEP_1) | instskip(SKIP_2) | instid1(VALU_DEP_2)
	v_sub_nc_u32_e32 v14, v0, v5
	v_mul_lo_u32 v0, v6, s6
	v_mul_lo_u32 v5, v8, s18
	v_sub_nc_u32_e32 v10, v2, v0
	s_delay_alu instid0(VALU_DEP_4) | instskip(NEXT) | instid1(VALU_DEP_3)
	v_mul_lo_u32 v9, v14, s17
	v_sub_nc_u32_e32 v13, v7, v5
	s_delay_alu instid0(VALU_DEP_2)
	v_sub_nc_u32_e32 v15, v8, v9
	s_cbranch_vccnz .LBB21_18
; %bb.5:                                ;   in Loop: Header=BB21_4 Depth=1
	s_delay_alu instid0(VALU_DEP_1)
	v_mul_lo_u32 v16, v15, s60
	v_mul_lo_u32 v4, s40, v14
	v_dual_add_nc_u32 v17, s13, v10 :: v_dual_add_nc_u32 v19, s11, v13
	v_mov_b32_e32 v12, 0
	s_mov_b32 s78, 0
	v_add_nc_u32_e32 v18, s12, v11
	v_mul_lo_u32 v6, s27, v16
	v_ashrrev_i32_e32 v5, 31, v4
	v_add_nc_u32_e32 v20, s60, v16
	s_delay_alu instid0(VALU_DEP_2) | instskip(NEXT) | instid1(VALU_DEP_4)
	v_lshl_add_u64 v[4:5], v[4:5], 2, s[38:39]
	v_ashrrev_i32_e32 v7, 31, v6
	s_delay_alu instid0(VALU_DEP_1)
	v_lshl_add_u64 v[6:7], v[6:7], 2, s[44:45]
	s_branch .LBB21_7
.LBB21_6:                               ;   in Loop: Header=BB21_7 Depth=2
	v_add_nc_u32_e32 v16, 1, v16
	s_delay_alu instid0(VALU_DEP_1) | instskip(SKIP_1) | instid1(SALU_CYCLE_1)
	v_cmp_ge_i32_e32 vcc_lo, v16, v20
	s_or_b32 s78, vcc_lo, s78
	s_and_not1_b32 exec_lo, exec_lo, s78
	s_cbranch_execz .LBB21_2
.LBB21_7:                               ;   Parent Loop BB21_4 Depth=1
                                        ; =>  This Loop Header: Depth=2
                                        ;       Child Loop BB21_10 Depth 3
                                        ;         Child Loop BB21_13 Depth 4
                                        ;           Child Loop BB21_16 Depth 5
	s_and_not1_b32 vcc_lo, exec_lo, s61
	s_cbranch_vccnz .LBB21_6
; %bb.8:                                ;   in Loop: Header=BB21_7 Depth=2
	v_mul_lo_u32 v8, s41, v16
	s_mov_b32 s79, 0
	s_delay_alu instid0(VALU_DEP_1) | instskip(NEXT) | instid1(VALU_DEP_1)
	v_ashrrev_i32_e32 v9, 31, v8
	v_lshl_add_u64 v[8:9], v[8:9], 2, v[4:5]
	s_branch .LBB21_10
.LBB21_9:                               ;   in Loop: Header=BB21_10 Depth=3
	s_add_co_i32 s79, s79, 1
	s_delay_alu instid0(SALU_CYCLE_1)
	s_cmp_eq_u32 s79, s24
	s_cbranch_scc1 .LBB21_6
.LBB21_10:                              ;   Parent Loop BB21_4 Depth=1
                                        ;     Parent Loop BB21_7 Depth=2
                                        ; =>    This Loop Header: Depth=3
                                        ;         Child Loop BB21_13 Depth 4
                                        ;           Child Loop BB21_16 Depth 5
	s_and_not1_b32 vcc_lo, exec_lo, s62
	s_cbranch_vccnz .LBB21_9
; %bb.11:                               ;   in Loop: Header=BB21_10 Depth=3
	s_mul_i32 s0, s14, s79
	s_mov_b32 s80, 0
	v_subrev_nc_u32_e32 v24, s0, v19
	s_delay_alu instid0(VALU_DEP_1) | instskip(NEXT) | instid1(VALU_DEP_1)
	v_sub_nc_u32_e32 v0, 0, v24
	v_max_i32_e32 v0, v24, v0
	s_delay_alu instid0(VALU_DEP_1) | instskip(NEXT) | instid1(VALU_DEP_1)
	v_mul_u64_e32 v[22:23], s[54:55], v[0:1]
	v_mul_lo_u32 v21, v23, s70
	s_delay_alu instid0(VALU_DEP_1) | instskip(NEXT) | instid1(VALU_DEP_1)
	v_dual_sub_nc_u32 v0, v0, v21 :: v_dual_add_nc_u32 v21, 1, v23
	v_cmp_le_u32_e32 vcc_lo, s70, v0
	s_delay_alu instid0(VALU_DEP_2) | instskip(SKIP_1) | instid1(VALU_DEP_1)
	v_dual_cndmask_b32 v21, v23, v21, vcc_lo :: v_dual_ashrrev_i32 v23, 31, v24
	v_subrev_nc_u32_e32 v22, s70, v0
	v_dual_cndmask_b32 v0, v0, v22, vcc_lo :: v_dual_add_nc_u32 v22, 1, v21
	s_delay_alu instid0(VALU_DEP_1) | instskip(NEXT) | instid1(VALU_DEP_2)
	v_cmp_le_u32_e32 vcc_lo, s70, v0
	v_dual_cndmask_b32 v0, v21, v22, vcc_lo :: v_dual_bitop2_b32 v23, s74, v23 bitop3:0x14
	s_delay_alu instid0(VALU_DEP_1) | instskip(NEXT) | instid1(VALU_DEP_1)
	v_xor_b32_e32 v0, v0, v23
	v_sub_nc_u32_e32 v0, v0, v23
	s_delay_alu instid0(VALU_DEP_1) | instskip(SKIP_3) | instid1(VALU_DEP_4)
	v_mul_lo_u32 v22, v0, s8
	v_mul_lo_u32 v21, v0, s22
	v_cmp_lt_i32_e64 s0, -1, v0
	v_cmp_gt_i32_e64 s1, s21, v0
	v_cmp_eq_u32_e64 s2, v22, v24
	s_branch .LBB21_13
.LBB21_12:                              ;   in Loop: Header=BB21_13 Depth=4
	s_add_co_i32 s80, s80, 1
	s_delay_alu instid0(SALU_CYCLE_1)
	s_cmp_eq_u32 s80, s25
	s_cbranch_scc1 .LBB21_9
.LBB21_13:                              ;   Parent Loop BB21_4 Depth=1
                                        ;     Parent Loop BB21_7 Depth=2
                                        ;       Parent Loop BB21_10 Depth=3
                                        ; =>      This Loop Header: Depth=4
                                        ;           Child Loop BB21_16 Depth 5
	s_and_not1_b32 vcc_lo, exec_lo, s63
	s_cbranch_vccnz .LBB21_12
; %bb.14:                               ;   in Loop: Header=BB21_13 Depth=4
	s_mul_i32 s3, s15, s80
	s_mov_b32 s82, s26
	v_subrev_nc_u32_e32 v24, s3, v18
	s_delay_alu instid0(VALU_DEP_1) | instskip(NEXT) | instid1(VALU_DEP_1)
	v_sub_nc_u32_e32 v0, 0, v24
	v_max_i32_e32 v0, v24, v0
	s_delay_alu instid0(VALU_DEP_1) | instskip(NEXT) | instid1(VALU_DEP_1)
	v_mul_u64_e32 v[22:23], s[56:57], v[0:1]
	v_mul_lo_u32 v22, v23, s72
	s_delay_alu instid0(VALU_DEP_1) | instskip(NEXT) | instid1(VALU_DEP_1)
	v_dual_sub_nc_u32 v0, v0, v22 :: v_dual_add_nc_u32 v22, 1, v23
	v_cmp_le_u32_e32 vcc_lo, s72, v0
	s_delay_alu instid0(VALU_DEP_2) | instskip(SKIP_1) | instid1(VALU_DEP_1)
	v_dual_cndmask_b32 v22, v23, v22 :: v_dual_ashrrev_i32 v23, 31, v24
	v_subrev_nc_u32_e32 v25, s72, v0
	v_dual_cndmask_b32 v0, v0, v25 :: v_dual_add_nc_u32 v25, 1, v22
	s_delay_alu instid0(VALU_DEP_1) | instskip(NEXT) | instid1(VALU_DEP_2)
	v_cmp_le_u32_e32 vcc_lo, s72, v0
	v_dual_cndmask_b32 v0, v22, v25, vcc_lo :: v_dual_bitop2_b32 v23, s75, v23 bitop3:0x14
	s_delay_alu instid0(VALU_DEP_1) | instskip(NEXT) | instid1(VALU_DEP_1)
	v_xor_b32_e32 v0, v0, v23
	v_sub_nc_u32_e32 v0, v0, v23
	s_delay_alu instid0(VALU_DEP_1) | instskip(SKIP_3) | instid1(VALU_DEP_3)
	v_mul_lo_u32 v23, v0, s9
	v_add_nc_u32_e32 v22, v0, v21
	v_cmp_gt_i32_e64 s3, s22, v0
	v_cmp_lt_i32_e32 vcc_lo, -1, v0
	v_mul_lo_u32 v22, v22, s23
	v_cmp_eq_u32_e64 s4, v23, v24
	v_mov_b32_e32 v23, v17
	s_and_b32 s81, s2, s4
	s_branch .LBB21_16
.LBB21_15:                              ;   in Loop: Header=BB21_16 Depth=5
	s_wait_xcnt 0x0
	s_or_b32 exec_lo, exec_lo, s4
	v_mul_lo_u32 v0, v0, s10
	v_add_nc_u64_e32 v[6:7], 4, v[6:7]
	s_add_co_i32 s82, s82, -1
	s_delay_alu instid0(VALU_DEP_2)
	v_cmp_eq_u32_e64 s4, v23, v0
	s_wait_loadcnt 0x0
	v_fma_f32 v0, v24, v25, v12
	v_subrev_nc_u32_e32 v23, s20, v23
	s_and_b32 s4, s81, s4
	s_cmp_eq_u32 s82, 0
	s_delay_alu instid0(VALU_DEP_2)
	v_cndmask_b32_e64 v12, v12, v0, s4
	s_cbranch_scc1 .LBB21_12
.LBB21_16:                              ;   Parent Loop BB21_4 Depth=1
                                        ;     Parent Loop BB21_7 Depth=2
                                        ;       Parent Loop BB21_10 Depth=3
                                        ;         Parent Loop BB21_13 Depth=4
                                        ; =>        This Inner Loop Header: Depth=5
	global_load_b32 v24, v[6:7], off
	v_sub_nc_u32_e32 v0, 0, v23
	s_delay_alu instid0(VALU_DEP_1) | instskip(NEXT) | instid1(VALU_DEP_1)
	v_max_i32_e32 v0, v23, v0
	v_mul_u64_e32 v[26:27], s[58:59], v[0:1]
	s_delay_alu instid0(VALU_DEP_1) | instskip(NEXT) | instid1(VALU_DEP_1)
	v_mul_lo_u32 v25, v27, s73
	v_dual_sub_nc_u32 v0, v0, v25 :: v_dual_add_nc_u32 v25, 1, v27
	s_delay_alu instid0(VALU_DEP_1) | instskip(NEXT) | instid1(VALU_DEP_1)
	v_cmp_le_u32_e64 s4, s73, v0
	v_dual_cndmask_b32 v25, v27, v25, s4 :: v_dual_ashrrev_i32 v27, 31, v23
	v_subrev_nc_u32_e32 v26, s73, v0
	s_delay_alu instid0(VALU_DEP_1) | instskip(NEXT) | instid1(VALU_DEP_1)
	v_dual_cndmask_b32 v0, v0, v26, s4 :: v_dual_add_nc_u32 v26, 1, v25
	v_cmp_le_u32_e64 s4, s73, v0
	s_delay_alu instid0(VALU_DEP_1) | instskip(NEXT) | instid1(VALU_DEP_1)
	v_dual_cndmask_b32 v0, v25, v26, s4 :: v_dual_bitop2_b32 v27, s76, v27 bitop3:0x14
	v_dual_mov_b32 v25, 0 :: v_dual_bitop2_b32 v0, v0, v27 bitop3:0x14
	s_delay_alu instid0(VALU_DEP_1) | instskip(NEXT) | instid1(VALU_DEP_1)
	v_sub_nc_u32_e32 v0, v0, v27
	v_cmp_lt_i32_e64 s4, -1, v0
	v_cmp_gt_i32_e64 s5, s23, v0
	s_and_b32 s4, s4, vcc_lo
	s_delay_alu instid0(SALU_CYCLE_1) | instskip(NEXT) | instid1(SALU_CYCLE_1)
	s_and_b32 s4, s4, s0
	s_and_b32 s4, s5, s4
	s_delay_alu instid0(SALU_CYCLE_1) | instskip(NEXT) | instid1(SALU_CYCLE_1)
	s_and_b32 s4, s4, s3
	s_and_b32 s5, s4, s1
	s_wait_xcnt 0x0
	s_and_saveexec_b32 s4, s5
	s_cbranch_execz .LBB21_15
; %bb.17:                               ;   in Loop: Header=BB21_16 Depth=5
	v_add_nc_u32_e32 v26, v0, v22
	s_delay_alu instid0(VALU_DEP_1) | instskip(NEXT) | instid1(VALU_DEP_1)
	v_ashrrev_i32_e32 v27, 31, v26
	v_lshl_add_u64 v[26:27], v[26:27], 2, v[8:9]
	global_load_b32 v25, v[26:27], off
	s_branch .LBB21_15
.LBB21_18:                              ;   in Loop: Header=BB21_4 Depth=1
	v_mov_b32_e32 v12, 0
	s_branch .LBB21_3
.LBB21_19:
	s_endpgm
	.section	.rodata,"a",@progbits
	.p2align	6, 0x0
	.amdhsa_kernel _ZN2at6native12_GLOBAL__N_143conv_depthwise3d_cuda_backward_input_kernelIffLin1ELin1ELin1ELin1ELin1ELin1ELin1ELin1ELin1EEEvN5torch10headeronly6detail27GenericPackedTensorAccessorINS5_14TensorAccessorIN3c108ArrayRefIlEEKT_Lm4ENS4_16DefaultPtrTraitsEiEENS_6detail16IndexBoundsCheckILm5EiEESC_Lm5ESD_iEENS6_INS7_ISA_SB_Lm4ESD_iEESH_SB_Lm5ESD_iEESI_iiiiiiiii
		.amdhsa_group_segment_fixed_size 0
		.amdhsa_private_segment_fixed_size 0
		.amdhsa_kernarg_size 440
		.amdhsa_user_sgpr_count 2
		.amdhsa_user_sgpr_dispatch_ptr 0
		.amdhsa_user_sgpr_queue_ptr 0
		.amdhsa_user_sgpr_kernarg_segment_ptr 1
		.amdhsa_user_sgpr_dispatch_id 0
		.amdhsa_user_sgpr_kernarg_preload_length 0
		.amdhsa_user_sgpr_kernarg_preload_offset 0
		.amdhsa_user_sgpr_private_segment_size 0
		.amdhsa_wavefront_size32 1
		.amdhsa_uses_dynamic_stack 0
		.amdhsa_enable_private_segment 0
		.amdhsa_system_sgpr_workgroup_id_x 1
		.amdhsa_system_sgpr_workgroup_id_y 0
		.amdhsa_system_sgpr_workgroup_id_z 0
		.amdhsa_system_sgpr_workgroup_info 0
		.amdhsa_system_vgpr_workitem_id 0
		.amdhsa_next_free_vgpr 28
		.amdhsa_next_free_sgpr 83
		.amdhsa_named_barrier_count 0
		.amdhsa_reserve_vcc 1
		.amdhsa_float_round_mode_32 0
		.amdhsa_float_round_mode_16_64 0
		.amdhsa_float_denorm_mode_32 3
		.amdhsa_float_denorm_mode_16_64 3
		.amdhsa_fp16_overflow 0
		.amdhsa_memory_ordered 1
		.amdhsa_forward_progress 1
		.amdhsa_inst_pref_size 18
		.amdhsa_round_robin_scheduling 0
		.amdhsa_exception_fp_ieee_invalid_op 0
		.amdhsa_exception_fp_denorm_src 0
		.amdhsa_exception_fp_ieee_div_zero 0
		.amdhsa_exception_fp_ieee_overflow 0
		.amdhsa_exception_fp_ieee_underflow 0
		.amdhsa_exception_fp_ieee_inexact 0
		.amdhsa_exception_int_div_zero 0
	.end_amdhsa_kernel
	.section	.text._ZN2at6native12_GLOBAL__N_143conv_depthwise3d_cuda_backward_input_kernelIffLin1ELin1ELin1ELin1ELin1ELin1ELin1ELin1ELin1EEEvN5torch10headeronly6detail27GenericPackedTensorAccessorINS5_14TensorAccessorIN3c108ArrayRefIlEEKT_Lm4ENS4_16DefaultPtrTraitsEiEENS_6detail16IndexBoundsCheckILm5EiEESC_Lm5ESD_iEENS6_INS7_ISA_SB_Lm4ESD_iEESH_SB_Lm5ESD_iEESI_iiiiiiiii,"axG",@progbits,_ZN2at6native12_GLOBAL__N_143conv_depthwise3d_cuda_backward_input_kernelIffLin1ELin1ELin1ELin1ELin1ELin1ELin1ELin1ELin1EEEvN5torch10headeronly6detail27GenericPackedTensorAccessorINS5_14TensorAccessorIN3c108ArrayRefIlEEKT_Lm4ENS4_16DefaultPtrTraitsEiEENS_6detail16IndexBoundsCheckILm5EiEESC_Lm5ESD_iEENS6_INS7_ISA_SB_Lm4ESD_iEESH_SB_Lm5ESD_iEESI_iiiiiiiii,comdat
.Lfunc_end21:
	.size	_ZN2at6native12_GLOBAL__N_143conv_depthwise3d_cuda_backward_input_kernelIffLin1ELin1ELin1ELin1ELin1ELin1ELin1ELin1ELin1EEEvN5torch10headeronly6detail27GenericPackedTensorAccessorINS5_14TensorAccessorIN3c108ArrayRefIlEEKT_Lm4ENS4_16DefaultPtrTraitsEiEENS_6detail16IndexBoundsCheckILm5EiEESC_Lm5ESD_iEENS6_INS7_ISA_SB_Lm4ESD_iEESH_SB_Lm5ESD_iEESI_iiiiiiiii, .Lfunc_end21-_ZN2at6native12_GLOBAL__N_143conv_depthwise3d_cuda_backward_input_kernelIffLin1ELin1ELin1ELin1ELin1ELin1ELin1ELin1ELin1EEEvN5torch10headeronly6detail27GenericPackedTensorAccessorINS5_14TensorAccessorIN3c108ArrayRefIlEEKT_Lm4ENS4_16DefaultPtrTraitsEiEENS_6detail16IndexBoundsCheckILm5EiEESC_Lm5ESD_iEENS6_INS7_ISA_SB_Lm4ESD_iEESH_SB_Lm5ESD_iEESI_iiiiiiiii
                                        ; -- End function
	.set _ZN2at6native12_GLOBAL__N_143conv_depthwise3d_cuda_backward_input_kernelIffLin1ELin1ELin1ELin1ELin1ELin1ELin1ELin1ELin1EEEvN5torch10headeronly6detail27GenericPackedTensorAccessorINS5_14TensorAccessorIN3c108ArrayRefIlEEKT_Lm4ENS4_16DefaultPtrTraitsEiEENS_6detail16IndexBoundsCheckILm5EiEESC_Lm5ESD_iEENS6_INS7_ISA_SB_Lm4ESD_iEESH_SB_Lm5ESD_iEESI_iiiiiiiii.num_vgpr, 28
	.set _ZN2at6native12_GLOBAL__N_143conv_depthwise3d_cuda_backward_input_kernelIffLin1ELin1ELin1ELin1ELin1ELin1ELin1ELin1ELin1EEEvN5torch10headeronly6detail27GenericPackedTensorAccessorINS5_14TensorAccessorIN3c108ArrayRefIlEEKT_Lm4ENS4_16DefaultPtrTraitsEiEENS_6detail16IndexBoundsCheckILm5EiEESC_Lm5ESD_iEENS6_INS7_ISA_SB_Lm4ESD_iEESH_SB_Lm5ESD_iEESI_iiiiiiiii.num_agpr, 0
	.set _ZN2at6native12_GLOBAL__N_143conv_depthwise3d_cuda_backward_input_kernelIffLin1ELin1ELin1ELin1ELin1ELin1ELin1ELin1ELin1EEEvN5torch10headeronly6detail27GenericPackedTensorAccessorINS5_14TensorAccessorIN3c108ArrayRefIlEEKT_Lm4ENS4_16DefaultPtrTraitsEiEENS_6detail16IndexBoundsCheckILm5EiEESC_Lm5ESD_iEENS6_INS7_ISA_SB_Lm4ESD_iEESH_SB_Lm5ESD_iEESI_iiiiiiiii.numbered_sgpr, 83
	.set _ZN2at6native12_GLOBAL__N_143conv_depthwise3d_cuda_backward_input_kernelIffLin1ELin1ELin1ELin1ELin1ELin1ELin1ELin1ELin1EEEvN5torch10headeronly6detail27GenericPackedTensorAccessorINS5_14TensorAccessorIN3c108ArrayRefIlEEKT_Lm4ENS4_16DefaultPtrTraitsEiEENS_6detail16IndexBoundsCheckILm5EiEESC_Lm5ESD_iEENS6_INS7_ISA_SB_Lm4ESD_iEESH_SB_Lm5ESD_iEESI_iiiiiiiii.num_named_barrier, 0
	.set _ZN2at6native12_GLOBAL__N_143conv_depthwise3d_cuda_backward_input_kernelIffLin1ELin1ELin1ELin1ELin1ELin1ELin1ELin1ELin1EEEvN5torch10headeronly6detail27GenericPackedTensorAccessorINS5_14TensorAccessorIN3c108ArrayRefIlEEKT_Lm4ENS4_16DefaultPtrTraitsEiEENS_6detail16IndexBoundsCheckILm5EiEESC_Lm5ESD_iEENS6_INS7_ISA_SB_Lm4ESD_iEESH_SB_Lm5ESD_iEESI_iiiiiiiii.private_seg_size, 0
	.set _ZN2at6native12_GLOBAL__N_143conv_depthwise3d_cuda_backward_input_kernelIffLin1ELin1ELin1ELin1ELin1ELin1ELin1ELin1ELin1EEEvN5torch10headeronly6detail27GenericPackedTensorAccessorINS5_14TensorAccessorIN3c108ArrayRefIlEEKT_Lm4ENS4_16DefaultPtrTraitsEiEENS_6detail16IndexBoundsCheckILm5EiEESC_Lm5ESD_iEENS6_INS7_ISA_SB_Lm4ESD_iEESH_SB_Lm5ESD_iEESI_iiiiiiiii.uses_vcc, 1
	.set _ZN2at6native12_GLOBAL__N_143conv_depthwise3d_cuda_backward_input_kernelIffLin1ELin1ELin1ELin1ELin1ELin1ELin1ELin1ELin1EEEvN5torch10headeronly6detail27GenericPackedTensorAccessorINS5_14TensorAccessorIN3c108ArrayRefIlEEKT_Lm4ENS4_16DefaultPtrTraitsEiEENS_6detail16IndexBoundsCheckILm5EiEESC_Lm5ESD_iEENS6_INS7_ISA_SB_Lm4ESD_iEESH_SB_Lm5ESD_iEESI_iiiiiiiii.uses_flat_scratch, 0
	.set _ZN2at6native12_GLOBAL__N_143conv_depthwise3d_cuda_backward_input_kernelIffLin1ELin1ELin1ELin1ELin1ELin1ELin1ELin1ELin1EEEvN5torch10headeronly6detail27GenericPackedTensorAccessorINS5_14TensorAccessorIN3c108ArrayRefIlEEKT_Lm4ENS4_16DefaultPtrTraitsEiEENS_6detail16IndexBoundsCheckILm5EiEESC_Lm5ESD_iEENS6_INS7_ISA_SB_Lm4ESD_iEESH_SB_Lm5ESD_iEESI_iiiiiiiii.has_dyn_sized_stack, 0
	.set _ZN2at6native12_GLOBAL__N_143conv_depthwise3d_cuda_backward_input_kernelIffLin1ELin1ELin1ELin1ELin1ELin1ELin1ELin1ELin1EEEvN5torch10headeronly6detail27GenericPackedTensorAccessorINS5_14TensorAccessorIN3c108ArrayRefIlEEKT_Lm4ENS4_16DefaultPtrTraitsEiEENS_6detail16IndexBoundsCheckILm5EiEESC_Lm5ESD_iEENS6_INS7_ISA_SB_Lm4ESD_iEESH_SB_Lm5ESD_iEESI_iiiiiiiii.has_recursion, 0
	.set _ZN2at6native12_GLOBAL__N_143conv_depthwise3d_cuda_backward_input_kernelIffLin1ELin1ELin1ELin1ELin1ELin1ELin1ELin1ELin1EEEvN5torch10headeronly6detail27GenericPackedTensorAccessorINS5_14TensorAccessorIN3c108ArrayRefIlEEKT_Lm4ENS4_16DefaultPtrTraitsEiEENS_6detail16IndexBoundsCheckILm5EiEESC_Lm5ESD_iEENS6_INS7_ISA_SB_Lm4ESD_iEESH_SB_Lm5ESD_iEESI_iiiiiiiii.has_indirect_call, 0
	.section	.AMDGPU.csdata,"",@progbits
; Kernel info:
; codeLenInByte = 2288
; TotalNumSgprs: 85
; NumVgprs: 28
; ScratchSize: 0
; MemoryBound: 0
; FloatMode: 240
; IeeeMode: 1
; LDSByteSize: 0 bytes/workgroup (compile time only)
; SGPRBlocks: 0
; VGPRBlocks: 1
; NumSGPRsForWavesPerEU: 85
; NumVGPRsForWavesPerEU: 28
; NamedBarCnt: 0
; Occupancy: 16
; WaveLimiterHint : 0
; COMPUTE_PGM_RSRC2:SCRATCH_EN: 0
; COMPUTE_PGM_RSRC2:USER_SGPR: 2
; COMPUTE_PGM_RSRC2:TRAP_HANDLER: 0
; COMPUTE_PGM_RSRC2:TGID_X_EN: 1
; COMPUTE_PGM_RSRC2:TGID_Y_EN: 0
; COMPUTE_PGM_RSRC2:TGID_Z_EN: 0
; COMPUTE_PGM_RSRC2:TIDIG_COMP_CNT: 0
	.section	.text._ZN2at6native12_GLOBAL__N_143conv_depthwise3d_cuda_backward_input_kernelIN3c104HalfEfLi3ELi3ELi3ELi1ELi1ELi1ELi1ELi1ELi1EEEvN5torch10headeronly6detail27GenericPackedTensorAccessorINS7_14TensorAccessorINS3_8ArrayRefIlEEKT_Lm4ENS6_16DefaultPtrTraitsEiEENS_6detail16IndexBoundsCheckILm5EiEESD_Lm5ESE_iEENS8_INS9_ISB_SC_Lm4ESE_iEESI_SC_Lm5ESE_iEESJ_iiiiiiiii,"axG",@progbits,_ZN2at6native12_GLOBAL__N_143conv_depthwise3d_cuda_backward_input_kernelIN3c104HalfEfLi3ELi3ELi3ELi1ELi1ELi1ELi1ELi1ELi1EEEvN5torch10headeronly6detail27GenericPackedTensorAccessorINS7_14TensorAccessorINS3_8ArrayRefIlEEKT_Lm4ENS6_16DefaultPtrTraitsEiEENS_6detail16IndexBoundsCheckILm5EiEESD_Lm5ESE_iEENS8_INS9_ISB_SC_Lm4ESE_iEESI_SC_Lm5ESE_iEESJ_iiiiiiiii,comdat
	.globl	_ZN2at6native12_GLOBAL__N_143conv_depthwise3d_cuda_backward_input_kernelIN3c104HalfEfLi3ELi3ELi3ELi1ELi1ELi1ELi1ELi1ELi1EEEvN5torch10headeronly6detail27GenericPackedTensorAccessorINS7_14TensorAccessorINS3_8ArrayRefIlEEKT_Lm4ENS6_16DefaultPtrTraitsEiEENS_6detail16IndexBoundsCheckILm5EiEESD_Lm5ESE_iEENS8_INS9_ISB_SC_Lm4ESE_iEESI_SC_Lm5ESE_iEESJ_iiiiiiiii ; -- Begin function _ZN2at6native12_GLOBAL__N_143conv_depthwise3d_cuda_backward_input_kernelIN3c104HalfEfLi3ELi3ELi3ELi1ELi1ELi1ELi1ELi1ELi1EEEvN5torch10headeronly6detail27GenericPackedTensorAccessorINS7_14TensorAccessorINS3_8ArrayRefIlEEKT_Lm4ENS6_16DefaultPtrTraitsEiEENS_6detail16IndexBoundsCheckILm5EiEESD_Lm5ESE_iEENS8_INS9_ISB_SC_Lm4ESE_iEESI_SC_Lm5ESE_iEESJ_iiiiiiiii
	.p2align	8
	.type	_ZN2at6native12_GLOBAL__N_143conv_depthwise3d_cuda_backward_input_kernelIN3c104HalfEfLi3ELi3ELi3ELi1ELi1ELi1ELi1ELi1ELi1EEEvN5torch10headeronly6detail27GenericPackedTensorAccessorINS7_14TensorAccessorINS3_8ArrayRefIlEEKT_Lm4ENS6_16DefaultPtrTraitsEiEENS_6detail16IndexBoundsCheckILm5EiEESD_Lm5ESE_iEENS8_INS9_ISB_SC_Lm4ESE_iEESI_SC_Lm5ESE_iEESJ_iiiiiiiii,@function
_ZN2at6native12_GLOBAL__N_143conv_depthwise3d_cuda_backward_input_kernelIN3c104HalfEfLi3ELi3ELi3ELi1ELi1ELi1ELi1ELi1ELi1EEEvN5torch10headeronly6detail27GenericPackedTensorAccessorINS7_14TensorAccessorINS3_8ArrayRefIlEEKT_Lm4ENS6_16DefaultPtrTraitsEiEENS_6detail16IndexBoundsCheckILm5EiEESD_Lm5ESE_iEENS8_INS9_ISB_SC_Lm4ESE_iEESI_SC_Lm5ESE_iEESJ_iiiiiiiii: ; @_ZN2at6native12_GLOBAL__N_143conv_depthwise3d_cuda_backward_input_kernelIN3c104HalfEfLi3ELi3ELi3ELi1ELi1ELi1ELi1ELi1ELi1EEEvN5torch10headeronly6detail27GenericPackedTensorAccessorINS7_14TensorAccessorINS3_8ArrayRefIlEEKT_Lm4ENS6_16DefaultPtrTraitsEiEENS_6detail16IndexBoundsCheckILm5EiEESD_Lm5ESE_iEENS8_INS9_ISB_SC_Lm4ESE_iEESI_SC_Lm5ESE_iEESJ_iiiiiiiii
; %bb.0:
	s_clause 0x1
	s_load_b128 s[4:7], s[0:1], 0x38
	s_load_b32 s2, s[0:1], 0xc4
	s_bfe_u32 s3, ttmp6, 0x4000c
	s_load_b64 s[20:21], s[0:1], 0x48
	s_add_co_i32 s3, s3, 1
	s_and_b32 s8, ttmp6, 15
	s_mul_i32 s3, ttmp9, s3
	s_getreg_b32 s9, hwreg(HW_REG_IB_STS2, 6, 4)
	v_mov_b32_e32 v1, 0
	s_add_co_i32 s8, s8, s3
	s_mov_b32 s25, 0
	s_wait_kmcnt 0x0
	s_abs_i32 s19, s5
	s_and_b32 s2, s2, 0xffff
	s_cmp_eq_u32 s9, 0
	s_mul_i32 s22, s21, s4
	s_cselect_b32 s3, ttmp9, s8
	s_ashr_i32 s23, s22, 31
	v_mad_nc_u64_u32 v[2:3], s2, s3, v[0:1]
	s_cvt_f32_u32 s3, s19
	s_mov_b32 s4, exec_lo
	s_delay_alu instid0(SALU_CYCLE_2) | instskip(SKIP_1) | instid1(TRANS32_DEP_1)
	v_rcp_iflag_f32_e32 v0, s3
	v_nop
	v_readfirstlane_b32 s3, v0
	s_delay_alu instid0(VALU_DEP_3)
	v_cmpx_gt_i64_e64 s[22:23], v[2:3]
	s_cbranch_execz .LBB22_62
; %bb.1:
	s_clause 0x1
	s_load_b128 s[8:11], s[0:1], 0xc
	s_load_b64 s[26:27], s[0:1], 0x0
	s_mul_f32 s3, s3, 0x4f7ffffe
	s_sub_co_i32 s4, 0, s19
	s_mov_b32 s13, s25
	s_ashr_i32 s33, s5, 31
	s_cvt_u32_f32 s3, s3
	s_add_nc_u64 s[36:37], s[0:1], 0xb8
	s_clause 0x3
	s_load_b96 s[16:18], s[0:1], 0x9c
	s_load_b32 s44, s[0:1], 0x7c
	s_load_b64 s[28:29], s[0:1], 0x1c
	s_load_b64 s[30:31], s[0:1], 0x30
	s_mul_i32 s12, s4, s3
	s_mov_b32 s41, s25
	s_mul_hi_u32 s12, s3, s12
	s_mov_b32 s43, s25
	s_add_co_i32 s12, s3, s12
	s_mov_b32 s53, s25
	s_wait_kmcnt 0x0
	s_abs_i32 s24, s8
	s_ashr_i32 s3, s8, 31
	s_mul_u64 s[38:39], s[24:25], s[12:13]
	s_xor_b32 s3, s3, s33
	s_mul_i32 s8, s39, s19
	s_clause 0x1
	s_load_b64 s[34:35], s[0:1], 0x60
	s_load_b128 s[12:15], s[0:1], 0x50
	s_sub_co_i32 s8, s24, s8
	s_add_co_i32 s24, s39, 1
	s_sub_co_i32 s38, s8, s19
	s_cmp_ge_u32 s8, s19
	s_wait_xcnt 0x0
	s_cselect_b32 s0, s24, s39
	s_cselect_b32 s1, s38, s8
	s_add_co_i32 s8, s0, 1
	s_cmp_ge_u32 s1, s19
	s_load_b32 s1, s[36:37], 0x0
	s_cselect_b32 s0, s8, s0
	v_readfirstlane_b32 s24, v0
	s_xor_b32 s0, s0, s3
	s_wait_xcnt 0x0
	s_mov_b32 s37, s25
	s_sub_co_i32 s8, s0, s3
	s_mov_b32 s39, s25
	s_cmp_gt_i32 s8, 0
	s_mul_f32 s0, s24, 0x4f7ffffe
	s_cselect_b32 s45, -1, 0
	s_abs_i32 s46, s20
	s_abs_i32 s47, s7
	;; [unrolled: 1-line block ×3, first 2 shown]
	s_cvt_f32_u32 s3, s46
	s_cvt_f32_u32 s24, s47
	;; [unrolled: 1-line block ×3, first 2 shown]
	s_cvt_u32_f32 s0, s0
	v_rcp_iflag_f32_e32 v0, s3
	v_rcp_iflag_f32_e32 v4, s24
	;; [unrolled: 1-line block ×3, first 2 shown]
	s_wait_kmcnt 0x0
	s_mul_i32 s24, s1, s2
	s_sub_co_i32 s36, 0, s46
	s_sub_co_i32 s38, 0, s47
	;; [unrolled: 1-line block ×3, first 2 shown]
	v_readfirstlane_b32 s1, v0
	v_readfirstlane_b32 s2, v4
	;; [unrolled: 1-line block ×3, first 2 shown]
	s_mul_i32 s4, s4, s0
	s_ashr_i32 s49, s20, 31
	s_mul_f32 s1, s1, 0x4f7ffffe
	s_mul_f32 s2, s2, 0x4f7ffffe
	;; [unrolled: 1-line block ×3, first 2 shown]
	s_ashr_i32 s50, s7, 31
	s_cvt_u32_f32 s1, s1
	s_cvt_u32_f32 s2, s2
	;; [unrolled: 1-line block ×3, first 2 shown]
	s_ashr_i32 s51, s6, 31
	s_mul_i32 s36, s36, s1
	s_mul_i32 s38, s38, s2
	;; [unrolled: 1-line block ×3, first 2 shown]
	s_mul_hi_u32 s36, s1, s36
	s_mul_hi_u32 s38, s2, s38
	s_mul_hi_u32 s40, s3, s40
	s_add_co_i32 s36, s1, s36
	s_mul_hi_u32 s1, s0, s4
	s_add_co_i32 s38, s2, s38
	s_add_co_i32 s40, s3, s40
	;; [unrolled: 1-line block ×3, first 2 shown]
	s_mul_i32 s52, s29, s8
	s_branch .LBB22_4
.LBB22_2:                               ;   in Loop: Header=BB22_4 Depth=1
	s_or_b32 exec_lo, exec_lo, s0
	s_delay_alu instid0(VALU_DEP_1)
	v_cvt_f16_f32_e32 v4, v72
.LBB22_3:                               ;   in Loop: Header=BB22_4 Depth=1
	v_mul_lo_u32 v6, v68, s21
	v_mul_lo_u32 v8, s12, v69
	;; [unrolled: 1-line block ×5, first 2 shown]
	v_add_nc_u64_e32 v[2:3], s[24:25], v[2:3]
	v_dual_ashrrev_i32 v7, 31, v6 :: v_dual_ashrrev_i32 v9, 31, v8
	s_delay_alu instid0(VALU_DEP_4) | instskip(NEXT) | instid1(VALU_DEP_4)
	v_dual_ashrrev_i32 v11, 31, v10 :: v_dual_ashrrev_i32 v13, 31, v12
	v_ashrrev_i32_e32 v15, 31, v14
	s_delay_alu instid0(VALU_DEP_3) | instskip(SKIP_1) | instid1(VALU_DEP_2)
	v_lshl_add_u64 v[6:7], v[6:7], 1, s[30:31]
	v_cmp_le_i64_e32 vcc_lo, s[22:23], v[2:3]
	v_lshl_add_u64 v[6:7], v[8:9], 1, v[6:7]
	s_or_b32 s53, vcc_lo, s53
	s_delay_alu instid0(VALU_DEP_1) | instskip(NEXT) | instid1(VALU_DEP_1)
	v_lshl_add_u64 v[6:7], v[10:11], 1, v[6:7]
	v_lshl_add_u64 v[6:7], v[12:13], 1, v[6:7]
	s_delay_alu instid0(VALU_DEP_1)
	v_lshl_add_u64 v[6:7], v[14:15], 1, v[6:7]
	global_store_b16 v[6:7], v4, off
	s_wait_xcnt 0x0
	s_and_not1_b32 exec_lo, exec_lo, s53
	s_cbranch_execz .LBB22_62
.LBB22_4:                               ; =>This Loop Header: Depth=1
                                        ;     Child Loop BB22_7 Depth 2
	v_sub_nc_u32_e32 v0, 0, v2
	s_delay_alu instid0(VALU_DEP_1) | instskip(NEXT) | instid1(VALU_DEP_1)
	v_max_i32_e32 v0, v2, v0
	v_mul_u64_e32 v[4:5], s[36:37], v[0:1]
	s_delay_alu instid0(VALU_DEP_1) | instskip(NEXT) | instid1(VALU_DEP_1)
	v_mul_lo_u32 v4, v5, s46
	v_dual_sub_nc_u32 v0, v0, v4 :: v_dual_add_nc_u32 v4, 1, v5
	s_delay_alu instid0(VALU_DEP_1) | instskip(NEXT) | instid1(VALU_DEP_2)
	v_cmp_le_u32_e32 vcc_lo, s46, v0
	v_cndmask_b32_e32 v4, v5, v4, vcc_lo
	v_subrev_nc_u32_e32 v6, s46, v0
	v_ashrrev_i32_e32 v5, 31, v2
	s_delay_alu instid0(VALU_DEP_2) | instskip(NEXT) | instid1(VALU_DEP_1)
	v_dual_cndmask_b32 v0, v0, v6, vcc_lo :: v_dual_add_nc_u32 v6, 1, v4
	v_cmp_le_u32_e32 vcc_lo, s46, v0
	s_delay_alu instid0(VALU_DEP_2) | instskip(NEXT) | instid1(VALU_DEP_1)
	v_dual_cndmask_b32 v0, v4, v6, vcc_lo :: v_dual_bitop2_b32 v5, s49, v5 bitop3:0x14
	v_xor_b32_e32 v0, v0, v5
	s_delay_alu instid0(VALU_DEP_1) | instskip(NEXT) | instid1(VALU_DEP_1)
	v_sub_nc_u32_e32 v6, v0, v5
	v_sub_nc_u32_e32 v0, 0, v6
	s_delay_alu instid0(VALU_DEP_1) | instskip(NEXT) | instid1(VALU_DEP_1)
	v_max_i32_e32 v0, v6, v0
	v_mul_u64_e32 v[4:5], s[38:39], v[0:1]
	s_delay_alu instid0(VALU_DEP_1) | instskip(NEXT) | instid1(VALU_DEP_1)
	v_mul_lo_u32 v4, v5, s47
	v_dual_sub_nc_u32 v0, v0, v4 :: v_dual_add_nc_u32 v4, 1, v5
	s_delay_alu instid0(VALU_DEP_1) | instskip(SKIP_1) | instid1(VALU_DEP_2)
	v_subrev_nc_u32_e32 v7, s47, v0
	v_cmp_le_u32_e32 vcc_lo, s47, v0
	v_dual_cndmask_b32 v4, v5, v4, vcc_lo :: v_dual_cndmask_b32 v0, v0, v7, vcc_lo
	s_delay_alu instid0(VALU_DEP_1) | instskip(NEXT) | instid1(VALU_DEP_2)
	v_dual_ashrrev_i32 v5, 31, v6 :: v_dual_add_nc_u32 v7, 1, v4
	v_cmp_le_u32_e32 vcc_lo, s47, v0
	s_delay_alu instid0(VALU_DEP_2) | instskip(NEXT) | instid1(VALU_DEP_1)
	v_dual_cndmask_b32 v0, v4, v7, vcc_lo :: v_dual_bitop2_b32 v5, s50, v5 bitop3:0x14
	v_xor_b32_e32 v0, v0, v5
	s_delay_alu instid0(VALU_DEP_1) | instskip(NEXT) | instid1(VALU_DEP_1)
	v_sub_nc_u32_e32 v7, v0, v5
	v_sub_nc_u32_e32 v0, 0, v7
	s_delay_alu instid0(VALU_DEP_1) | instskip(NEXT) | instid1(VALU_DEP_1)
	v_max_i32_e32 v0, v7, v0
	v_mul_u64_e32 v[4:5], s[40:41], v[0:1]
	s_delay_alu instid0(VALU_DEP_1) | instskip(NEXT) | instid1(VALU_DEP_1)
	v_mul_lo_u32 v4, v5, s48
	v_dual_sub_nc_u32 v0, v0, v4 :: v_dual_add_nc_u32 v4, 1, v5
	s_delay_alu instid0(VALU_DEP_1) | instskip(SKIP_1) | instid1(VALU_DEP_3)
	v_subrev_nc_u32_e32 v8, s48, v0
	v_cmp_le_u32_e32 vcc_lo, s48, v0
	v_dual_cndmask_b32 v4, v5, v4 :: v_dual_ashrrev_i32 v5, 31, v7
	s_delay_alu instid0(VALU_DEP_1) | instskip(NEXT) | instid1(VALU_DEP_2)
	v_dual_cndmask_b32 v0, v0, v8, vcc_lo :: v_dual_bitop2_b32 v5, s51, v5 bitop3:0x14
	v_add_nc_u32_e32 v8, 1, v4
	s_delay_alu instid0(VALU_DEP_2) | instskip(NEXT) | instid1(VALU_DEP_2)
	v_cmp_le_u32_e32 vcc_lo, s48, v0
	v_cndmask_b32_e32 v0, v4, v8, vcc_lo
	s_delay_alu instid0(VALU_DEP_1) | instskip(NEXT) | instid1(VALU_DEP_1)
	v_xor_b32_e32 v0, v0, v5
	v_sub_nc_u32_e32 v8, v0, v5
	s_delay_alu instid0(VALU_DEP_1) | instskip(NEXT) | instid1(VALU_DEP_1)
	v_sub_nc_u32_e32 v0, 0, v8
	v_max_i32_e32 v0, v8, v0
	s_delay_alu instid0(VALU_DEP_1) | instskip(NEXT) | instid1(VALU_DEP_1)
	v_mul_u64_e32 v[4:5], s[42:43], v[0:1]
	v_mul_lo_u32 v4, v5, s19
	s_delay_alu instid0(VALU_DEP_1) | instskip(NEXT) | instid1(VALU_DEP_1)
	v_dual_sub_nc_u32 v0, v0, v4 :: v_dual_add_nc_u32 v4, 1, v5
	v_subrev_nc_u32_e32 v9, s19, v0
	v_cmp_le_u32_e32 vcc_lo, s19, v0
	s_delay_alu instid0(VALU_DEP_2) | instskip(SKIP_1) | instid1(VALU_DEP_2)
	v_dual_cndmask_b32 v4, v5, v4, vcc_lo :: v_dual_cndmask_b32 v0, v0, v9, vcc_lo
	v_ashrrev_i32_e32 v5, 31, v8
	v_add_nc_u32_e32 v9, 1, v4
	s_delay_alu instid0(VALU_DEP_3) | instskip(NEXT) | instid1(VALU_DEP_3)
	v_cmp_le_u32_e32 vcc_lo, s19, v0
	v_xor_b32_e32 v5, s33, v5
	s_delay_alu instid0(VALU_DEP_3) | instskip(SKIP_2) | instid1(VALU_DEP_1)
	v_cndmask_b32_e32 v0, v4, v9, vcc_lo
	v_mul_lo_u32 v4, v7, s7
	s_and_not1_b32 vcc_lo, exec_lo, s45
	v_dual_sub_nc_u32 v66, v6, v4 :: v_dual_bitop2_b32 v0, v0, v5 bitop3:0x14
	s_delay_alu instid0(VALU_DEP_1) | instskip(SKIP_2) | instid1(VALU_DEP_2)
	v_sub_nc_u32_e32 v68, v0, v5
	v_mul_lo_u32 v0, v6, s20
	v_mul_lo_u32 v5, v8, s6
	v_sub_nc_u32_e32 v0, v2, v0
	s_delay_alu instid0(VALU_DEP_4) | instskip(NEXT) | instid1(VALU_DEP_3)
	v_mul_lo_u32 v9, v68, s5
	v_sub_nc_u32_e32 v67, v7, v5
	s_delay_alu instid0(VALU_DEP_2)
	v_sub_nc_u32_e32 v69, v8, v9
	s_cbranch_vccnz .LBB22_61
; %bb.5:                                ;   in Loop: Header=BB22_4 Depth=1
	s_delay_alu instid0(VALU_DEP_2) | instskip(SKIP_1) | instid1(VALU_DEP_3)
	v_dual_add_nc_u32 v23, s16, v67 :: v_dual_add_nc_u32 v40, s17, v66
	v_add_nc_u32_e32 v55, s18, v0
	v_mul_lo_u32 v70, v69, s8
	v_mul_lo_u32 v6, s28, v68
	s_delay_alu instid0(VALU_DEP_4) | instskip(SKIP_3) | instid1(VALU_DEP_3)
	v_mul_lo_u32 v22, v23, s10
	v_dual_add_nc_u32 v48, -2, v40 :: v_dual_add_nc_u32 v44, -1, v40
	v_add_nc_u32_e32 v41, -2, v23
	v_dual_add_nc_u32 v58, -1, v55 :: v_dual_bitop2_b32 v4, v55, v40 bitop3:0x54
	v_dual_add_nc_u32 v25, -1, v23 :: v_dual_bitop2_b32 v21, v55, v48 bitop3:0x54
	s_delay_alu instid0(VALU_DEP_2) | instskip(SKIP_4) | instid1(VALU_DEP_3)
	v_dual_add_nc_u32 v59, -2, v55 :: v_dual_bitop2_b32 v26, v58, v48 bitop3:0x54
	v_dual_add_nc_u32 v16, v44, v22 :: v_dual_bitop2_b32 v11, v58, v40 bitop3:0x54
	v_dual_add_nc_u32 v5, v40, v22 :: v_dual_bitop2_b32 v15, v55, v44 bitop3:0x54
	v_dual_ashrrev_i32 v7, 31, v6 :: v_dual_bitop2_b32 v42, v4, v41 bitop3:0x54
	v_mul_lo_u32 v8, s44, v70
	v_mul_lo_u32 v12, v5, s11
	v_or_b32_e32 v24, v4, v25
	v_or_b32_e32 v4, v4, v23
	v_mul_lo_u32 v19, v16, s11
	v_or_b32_e32 v13, v59, v40
	v_cmp_gt_i32_e64 s0, s10, v40
	v_cmp_gt_i32_e64 s1, s11, v55
	v_cmp_lt_i32_e64 s3, -1, v4
	v_cmp_gt_i32_e32 vcc_lo, s9, v23
	v_cmp_gt_i32_e64 s2, s11, v58
	v_dual_add_nc_u32 v4, v55, v12 :: v_dual_bitop2_b32 v14, v13, v23 bitop3:0x54
	v_or_b32_e32 v10, v11, v23
	s_and_b32 s72, s1, s0
	s_and_b32 s73, s2, s0
	;; [unrolled: 1-line block ×3, first 2 shown]
	v_ashrrev_i32_e32 v5, 31, v4
	s_and_b32 s54, s3, vcc_lo
	v_cmp_lt_i32_e64 s3, -1, v10
	v_dual_add_nc_u32 v31, v48, v22 :: v_dual_bitop2_b32 v28, v59, v48 bitop3:0x54
	v_cmp_lt_i32_e64 s4, -1, v14
	v_or_b32_e32 v14, v15, v23
	s_and_b32 s3, s73, s3
	v_add_nc_u32_e32 v10, v58, v12
	s_and_b32 s55, s3, vcc_lo
	v_cmp_gt_i32_e64 s3, s11, v59
	v_or_b32_e32 v17, v58, v44
	v_mul_lo_u32 v31, v31, s11
	v_add_nc_u32_e32 v12, v59, v12
	v_or_b32_e32 v43, v11, v41
	s_and_b32 s74, s3, s0
	v_cmp_gt_i32_e64 s0, s10, v44
	s_and_b32 s4, s74, s4
	v_or_b32_e32 v18, v59, v44
	s_and_b32 s56, s4, vcc_lo
	v_cmp_lt_i32_e64 s4, -1, v14
	v_add_nc_u32_e32 v14, v55, v19
	v_dual_ashrrev_i32 v11, 31, v10 :: v_dual_bitop2_b32 v27, v11, v25 bitop3:0x54
	v_or_b32_e32 v16, v17, v23
	s_and_b32 s75, s1, s0
	v_subrev_nc_u32_e32 v37, s10, v22
	s_and_b32 s4, s75, s4
	v_add_nc_u32_e32 v22, v58, v31
	s_and_b32 s57, s4, vcc_lo
	v_cmp_lt_i32_e64 s4, -1, v16
	v_dual_add_nc_u32 v35, v40, v37 :: v_dual_bitop2_b32 v20, v18, v23 bitop3:0x54
	s_and_b32 s76, s2, s0
	s_and_b32 s78, s3, s0
	v_cmp_gt_i32_e64 s0, s10, v48
	s_and_b32 s4, s76, s4
	v_ashrrev_i32_e32 v9, 31, v8
	s_and_b32 s58, s4, vcc_lo
	v_cmp_lt_i32_e64 s4, -1, v20
	v_or_b32_e32 v49, v18, v41
	s_and_b32 s79, s1, s0
	s_and_b32 s77, s2, s0
	;; [unrolled: 1-line block ×3, first 2 shown]
	v_cmp_lt_i32_e64 s0, -1, v24
	v_add_nc_u32_e32 v24, v59, v31
	v_or_b32_e32 v20, v21, v23
	s_and_b32 s4, s78, s4
	v_or_b32_e32 v34, v26, v23
	s_and_b32 s59, s4, vcc_lo
	v_or_b32_e32 v32, v17, v25
	v_cmp_lt_i32_e64 s4, -1, v20
	v_dual_add_nc_u32 v20, v55, v31 :: v_dual_add_nc_u32 v31, v44, v37
	v_or_b32_e32 v46, v15, v41
	v_or_b32_e32 v30, v15, v25
	s_and_b32 s1, s79, s4
	v_or_b32_e32 v47, v17, v41
	s_and_b32 s60, s1, vcc_lo
	v_cmp_lt_i32_e64 s1, -1, v34
	v_dual_ashrrev_i32 v15, 31, v14 :: v_dual_bitop2_b32 v34, v28, v23 bitop3:0x54
	v_dual_add_nc_u32 v16, v58, v19 :: v_dual_bitop2_b32 v29, v13, v25 bitop3:0x54
	s_and_b32 s1, s77, s1
	s_and_b32 s0, s72, s0
	s_and_b32 s61, s1, vcc_lo
	v_cmp_lt_i32_e64 s1, -1, v34
	v_mul_lo_u32 v52, v31, s11
	v_mul_lo_u32 v34, v35, s11
	v_dual_add_nc_u32 v18, v59, v19 :: v_dual_bitop2_b32 v33, v18, v25 bitop3:0x54
	s_and_b32 s1, s80, s1
	v_ashrrev_i32_e32 v23, 31, v22
	s_and_b32 s62, s1, vcc_lo
	v_cmp_gt_i32_e32 vcc_lo, s9, v25
	v_cmp_lt_i32_e64 s1, -1, v27
	v_or_b32_e32 v53, v28, v41
	v_or_b32_e32 v51, v26, v41
	;; [unrolled: 1-line block ×3, first 2 shown]
	s_and_b32 s63, s0, vcc_lo
	s_and_b32 s0, s73, s1
	v_cmp_lt_i32_e64 s1, -1, v30
	s_and_b32 s64, s0, vcc_lo
	v_cmp_lt_i32_e64 s0, -1, v29
	v_dual_add_nc_u32 v30, v59, v34 :: v_dual_bitop2_b32 v38, v26, v25 bitop3:0x54
	v_dual_add_nc_u32 v26, v55, v34 :: v_dual_bitop2_b32 v39, v28, v25 bitop3:0x54
	s_and_b32 s0, s74, s0
	v_add_nc_u32_e32 v28, v58, v34
	s_and_b32 s65, s0, vcc_lo
	s_and_b32 s0, s75, s1
	v_cmp_lt_i32_e64 s1, -1, v33
	s_and_b32 s66, s0, vcc_lo
	v_cmp_lt_i32_e64 s0, -1, v32
	v_dual_add_nc_u32 v32, v55, v52 :: v_dual_add_nc_u32 v35, v48, v37
	v_dual_add_nc_u32 v34, v58, v52 :: v_dual_ashrrev_i32 v31, 31, v30
	s_and_b32 s0, s76, s0
	s_delay_alu instid0(VALU_DEP_2) | instskip(NEXT) | instid1(VALU_DEP_3)
	v_ashrrev_i32_e32 v33, 31, v32
	v_mul_lo_u32 v54, v35, s11
	s_and_b32 s67, s0, vcc_lo
	s_and_b32 s0, s78, s1
	v_ashrrev_i32_e32 v35, 31, v34
	s_and_b32 s68, s0, vcc_lo
	v_cmp_lt_i32_e64 s0, -1, v36
	v_add_nc_u32_e32 v36, v59, v52
	v_cmp_lt_i32_e64 s1, -1, v38
	v_subrev_nc_u32_e32 v52, s10, v37
	v_cmp_lt_i32_e64 s2, -1, v39
	s_and_b32 s0, s79, s0
	v_dual_add_nc_u32 v38, v55, v54 :: v_dual_ashrrev_i32 v37, 31, v36
	v_add_nc_u32_e32 v56, v40, v52
	s_and_b32 s69, s0, vcc_lo
	s_and_b32 s0, s77, s1
	s_delay_alu instid0(VALU_DEP_2)
	v_ashrrev_i32_e32 v39, 31, v38
	v_cmp_lt_i32_e64 s1, -1, v42
	v_mul_lo_u32 v56, v56, s11
	v_dual_ashrrev_i32 v17, 31, v16 :: v_dual_bitop2_b32 v45, v13, v41 bitop3:0x54
	s_and_b32 s70, s0, vcc_lo
	v_cmp_gt_i32_e64 s0, s9, v41
	s_and_b32 s2, s80, s2
	s_and_b32 s1, s72, s1
	v_dual_ashrrev_i32 v27, 31, v26 :: v_dual_bitop2_b32 v50, v21, v41 bitop3:0x54
	v_ashrrev_i32_e32 v21, 31, v20
	s_and_b32 s71, s2, vcc_lo
	s_and_b32 s72, s1, s0
	v_cmp_lt_i32_e32 vcc_lo, -1, v45
	v_cmp_lt_i32_e64 s1, -1, v46
	v_cmp_lt_i32_e64 s4, -1, v49
	v_add_nc_u32_e32 v46, v58, v56
	v_add_nc_u32_e32 v49, v48, v52
	v_add_nc_u32_e32 v48, v59, v56
	v_dual_add_nc_u32 v45, v44, v52 :: v_dual_add_nc_u32 v40, v58, v54
	v_add_nc_u32_e32 v42, v59, v54
	v_cmp_lt_i32_e64 s2, -1, v47
	v_ashrrev_i32_e32 v47, 31, v46
	s_delay_alu instid0(VALU_DEP_4)
	v_mul_lo_u32 v54, v45, s11
	v_ashrrev_i32_e32 v13, 31, v12
	v_cmp_lt_i32_e64 s3, -1, v43
	s_and_b32 s1, s75, s1
	v_mul_lo_u32 v62, s52, v69
	s_and_b32 s75, s1, s0
	s_and_b32 s1, s76, s2
	;; [unrolled: 1-line block ×3, first 2 shown]
	v_add_nc_u32_e32 v44, v55, v56
	s_and_b32 s73, s3, s0
	s_and_b32 s3, s74, vcc_lo
	v_add_nc_u32_e32 v52, v58, v54
	v_mul_lo_u32 v60, v49, s11
	v_cmp_lt_i32_e32 vcc_lo, -1, v50
	v_dual_add_nc_u32 v50, v55, v54 :: v_dual_ashrrev_i32 v49, 31, v48
	v_add_nc_u32_e32 v54, v59, v54
	s_and_b32 s74, s3, s0
	v_cmp_lt_i32_e64 s3, -1, v51
	s_and_b32 s2, s1, s0
	v_cmp_lt_i32_e64 s1, -1, v53
	v_lshl_add_u64 v[6:7], v[6:7], 1, s[26:27]
	v_lshl_add_u64 v[8:9], v[8:9], 1, s[34:35]
	v_dual_add_nc_u32 v56, v55, v60 :: v_dual_add_nc_u32 v58, v58, v60
	v_dual_add_nc_u32 v60, v59, v60 :: v_dual_add_nc_u32 v71, s8, v70
	v_dual_ashrrev_i32 v19, 31, v18 :: v_dual_ashrrev_i32 v25, 31, v24
	v_ashrrev_i32_e32 v29, 31, v28
	v_dual_ashrrev_i32 v41, 31, v40 :: v_dual_ashrrev_i32 v43, 31, v42
	v_dual_ashrrev_i32 v45, 31, v44 :: v_dual_ashrrev_i32 v51, 31, v50
	;; [unrolled: 1-line block ×4, first 2 shown]
	v_dual_mov_b32 v72, 0 :: v_dual_ashrrev_i32 v61, 31, v60
	s_and_b32 s4, s78, s4
	s_and_b32 s76, s79, vcc_lo
	s_and_b32 s3, s77, s3
	s_and_b32 s77, s80, s1
	;; [unrolled: 1-line block ×6, first 2 shown]
	s_mov_b32 s0, 0
	s_branch .LBB22_7
.LBB22_6:                               ;   in Loop: Header=BB22_7 Depth=2
	s_wait_xcnt 0x0
	s_or_b32 exec_lo, exec_lo, s77
	s_wait_loadcnt 0x1a
	v_fma_mix_f32 v63, v63, v73, v72 op_sel_hi:[0,1,0]
	v_add_nc_u32_e32 v70, 1, v70
	v_add_nc_u64_e32 v[8:9], 54, v[8:9]
	v_add_nc_u32_e32 v62, s29, v62
	s_wait_loadcnt 0x19
	v_fma_mix_f32 v63, v76, v74, v63 op_sel_hi:[0,1,0]
	v_cmp_ge_i32_e32 vcc_lo, v70, v71
	s_wait_loadcnt 0x18
	s_delay_alu instid0(VALU_DEP_2) | instskip(SKIP_2) | instid1(VALU_DEP_1)
	v_fma_mix_f32 v63, v75, v77, v63 op_sel_hi:[0,1,0]
	s_or_b32 s0, vcc_lo, s0
	s_wait_loadcnt 0x17
	v_fma_mix_f32 v63, v80, v78, v63 op_sel_hi:[0,1,0]
	s_wait_loadcnt 0x16
	s_delay_alu instid0(VALU_DEP_1) | instskip(SKIP_1) | instid1(VALU_DEP_1)
	v_fma_mix_f32 v63, v79, v81, v63 op_sel_hi:[0,1,0]
	s_wait_loadcnt 0x15
	v_fma_mix_f32 v63, v84, v82, v63 op_sel_hi:[0,1,0]
	s_wait_loadcnt 0x14
	s_delay_alu instid0(VALU_DEP_1) | instskip(SKIP_1) | instid1(VALU_DEP_1)
	v_fma_mix_f32 v63, v83, v85, v63 op_sel_hi:[0,1,0]
	;; [unrolled: 5-line block ×11, first 2 shown]
	s_wait_loadcnt 0x1
	v_fma_mix_f32 v63, v124, v122, v63 op_sel_hi:[0,1,0]
	s_wait_loadcnt 0x0
	s_delay_alu instid0(VALU_DEP_1)
	v_fma_mix_f32 v72, v123, v125, v63 op_sel_hi:[0,1,0]
	s_and_not1_b32 exec_lo, exec_lo, s0
	s_cbranch_execz .LBB22_2
.LBB22_7:                               ;   Parent Loop BB22_4 Depth=1
                                        ; =>  This Inner Loop Header: Depth=2
	global_load_u16 v73, v[8:9], off
	v_ashrrev_i32_e32 v63, 31, v62
	s_delay_alu instid0(VALU_DEP_1)
	v_lshl_add_u64 v[64:65], v[62:63], 1, v[6:7]
	v_mov_b32_e32 v63, 0
	s_wait_xcnt 0x0
	s_and_saveexec_b32 s77, s54
	s_cbranch_execz .LBB22_9
; %bb.8:                                ;   in Loop: Header=BB22_7 Depth=2
	v_lshl_add_u64 v[74:75], v[4:5], 1, v[64:65]
	global_load_u16 v63, v[74:75], off
	s_wait_loadcnt 0x0
	v_cvt_f32_f16_e32 v63, v63
.LBB22_9:                               ;   in Loop: Header=BB22_7 Depth=2
	s_wait_xcnt 0x0
	s_or_b32 exec_lo, exec_lo, s77
	global_load_u16 v74, v[8:9], off offset:2
	v_dual_mov_b32 v75, 0 :: v_dual_mov_b32 v76, 0
	s_wait_xcnt 0x0
	s_and_saveexec_b32 s77, s55
	s_cbranch_execz .LBB22_11
; %bb.10:                               ;   in Loop: Header=BB22_7 Depth=2
	v_lshl_add_u64 v[76:77], v[10:11], 1, v[64:65]
	global_load_u16 v76, v[76:77], off
	s_wait_loadcnt 0x0
	s_wait_xcnt 0x0
	v_cvt_f32_f16_e32 v76, v76
.LBB22_11:                              ;   in Loop: Header=BB22_7 Depth=2
	s_or_b32 exec_lo, exec_lo, s77
	global_load_u16 v77, v[8:9], off offset:4
	s_wait_xcnt 0x0
	s_and_saveexec_b32 s77, s56
	s_cbranch_execz .LBB22_13
; %bb.12:                               ;   in Loop: Header=BB22_7 Depth=2
	v_lshl_add_u64 v[78:79], v[12:13], 1, v[64:65]
	global_load_u16 v75, v[78:79], off
	s_wait_loadcnt 0x0
	v_cvt_f32_f16_e32 v75, v75
.LBB22_13:                              ;   in Loop: Header=BB22_7 Depth=2
	s_wait_xcnt 0x0
	s_or_b32 exec_lo, exec_lo, s77
	global_load_u16 v78, v[8:9], off offset:6
	v_dual_mov_b32 v79, 0 :: v_dual_mov_b32 v80, 0
	s_wait_xcnt 0x0
	s_and_saveexec_b32 s77, s57
	s_cbranch_execz .LBB22_15
; %bb.14:                               ;   in Loop: Header=BB22_7 Depth=2
	v_lshl_add_u64 v[80:81], v[14:15], 1, v[64:65]
	global_load_u16 v80, v[80:81], off
	s_wait_loadcnt 0x0
	s_wait_xcnt 0x0
	v_cvt_f32_f16_e32 v80, v80
.LBB22_15:                              ;   in Loop: Header=BB22_7 Depth=2
	s_or_b32 exec_lo, exec_lo, s77
	global_load_u16 v81, v[8:9], off offset:8
	s_wait_xcnt 0x0
	s_and_saveexec_b32 s77, s58
	s_cbranch_execz .LBB22_17
; %bb.16:                               ;   in Loop: Header=BB22_7 Depth=2
	v_lshl_add_u64 v[82:83], v[16:17], 1, v[64:65]
	global_load_u16 v79, v[82:83], off
	s_wait_loadcnt 0x0
	v_cvt_f32_f16_e32 v79, v79
.LBB22_17:                              ;   in Loop: Header=BB22_7 Depth=2
	;; [unrolled: 25-line block ×12, first 2 shown]
	s_wait_xcnt 0x0
	s_or_b32 exec_lo, exec_lo, s77
	global_load_u16 v122, v[8:9], off offset:50
	v_dual_mov_b32 v123, 0 :: v_dual_mov_b32 v124, 0
	s_wait_xcnt 0x0
	s_and_saveexec_b32 s77, s1
	s_cbranch_execz .LBB22_59
; %bb.58:                               ;   in Loop: Header=BB22_7 Depth=2
	v_lshl_add_u64 v[124:125], v[58:59], 1, v[64:65]
	global_load_u16 v124, v[124:125], off
	s_wait_loadcnt 0x0
	s_wait_xcnt 0x0
	v_cvt_f32_f16_e32 v124, v124
.LBB22_59:                              ;   in Loop: Header=BB22_7 Depth=2
	s_or_b32 exec_lo, exec_lo, s77
	global_load_u16 v125, v[8:9], off offset:52
	s_wait_xcnt 0x0
	s_and_saveexec_b32 s77, s3
	s_cbranch_execz .LBB22_6
; %bb.60:                               ;   in Loop: Header=BB22_7 Depth=2
	v_lshl_add_u64 v[64:65], v[60:61], 1, v[64:65]
	global_load_u16 v64, v[64:65], off
	s_wait_loadcnt 0x0
	v_cvt_f32_f16_e32 v123, v64
	s_branch .LBB22_6
.LBB22_61:                              ;   in Loop: Header=BB22_4 Depth=1
	v_mov_b32_e32 v4, 0
	s_branch .LBB22_3
.LBB22_62:
	s_sendmsg sendmsg(MSG_DEALLOC_VGPRS)
	s_endpgm
	.section	.rodata,"a",@progbits
	.p2align	6, 0x0
	.amdhsa_kernel _ZN2at6native12_GLOBAL__N_143conv_depthwise3d_cuda_backward_input_kernelIN3c104HalfEfLi3ELi3ELi3ELi1ELi1ELi1ELi1ELi1ELi1EEEvN5torch10headeronly6detail27GenericPackedTensorAccessorINS7_14TensorAccessorINS3_8ArrayRefIlEEKT_Lm4ENS6_16DefaultPtrTraitsEiEENS_6detail16IndexBoundsCheckILm5EiEESD_Lm5ESE_iEENS8_INS9_ISB_SC_Lm4ESE_iEESI_SC_Lm5ESE_iEESJ_iiiiiiiii
		.amdhsa_group_segment_fixed_size 0
		.amdhsa_private_segment_fixed_size 0
		.amdhsa_kernarg_size 440
		.amdhsa_user_sgpr_count 2
		.amdhsa_user_sgpr_dispatch_ptr 0
		.amdhsa_user_sgpr_queue_ptr 0
		.amdhsa_user_sgpr_kernarg_segment_ptr 1
		.amdhsa_user_sgpr_dispatch_id 0
		.amdhsa_user_sgpr_kernarg_preload_length 0
		.amdhsa_user_sgpr_kernarg_preload_offset 0
		.amdhsa_user_sgpr_private_segment_size 0
		.amdhsa_wavefront_size32 1
		.amdhsa_uses_dynamic_stack 0
		.amdhsa_enable_private_segment 0
		.amdhsa_system_sgpr_workgroup_id_x 1
		.amdhsa_system_sgpr_workgroup_id_y 0
		.amdhsa_system_sgpr_workgroup_id_z 0
		.amdhsa_system_sgpr_workgroup_info 0
		.amdhsa_system_vgpr_workitem_id 0
		.amdhsa_next_free_vgpr 126
		.amdhsa_next_free_sgpr 81
		.amdhsa_named_barrier_count 0
		.amdhsa_reserve_vcc 1
		.amdhsa_float_round_mode_32 0
		.amdhsa_float_round_mode_16_64 0
		.amdhsa_float_denorm_mode_32 3
		.amdhsa_float_denorm_mode_16_64 3
		.amdhsa_fp16_overflow 0
		.amdhsa_memory_ordered 1
		.amdhsa_forward_progress 1
		.amdhsa_inst_pref_size 37
		.amdhsa_round_robin_scheduling 0
		.amdhsa_exception_fp_ieee_invalid_op 0
		.amdhsa_exception_fp_denorm_src 0
		.amdhsa_exception_fp_ieee_div_zero 0
		.amdhsa_exception_fp_ieee_overflow 0
		.amdhsa_exception_fp_ieee_underflow 0
		.amdhsa_exception_fp_ieee_inexact 0
		.amdhsa_exception_int_div_zero 0
	.end_amdhsa_kernel
	.section	.text._ZN2at6native12_GLOBAL__N_143conv_depthwise3d_cuda_backward_input_kernelIN3c104HalfEfLi3ELi3ELi3ELi1ELi1ELi1ELi1ELi1ELi1EEEvN5torch10headeronly6detail27GenericPackedTensorAccessorINS7_14TensorAccessorINS3_8ArrayRefIlEEKT_Lm4ENS6_16DefaultPtrTraitsEiEENS_6detail16IndexBoundsCheckILm5EiEESD_Lm5ESE_iEENS8_INS9_ISB_SC_Lm4ESE_iEESI_SC_Lm5ESE_iEESJ_iiiiiiiii,"axG",@progbits,_ZN2at6native12_GLOBAL__N_143conv_depthwise3d_cuda_backward_input_kernelIN3c104HalfEfLi3ELi3ELi3ELi1ELi1ELi1ELi1ELi1ELi1EEEvN5torch10headeronly6detail27GenericPackedTensorAccessorINS7_14TensorAccessorINS3_8ArrayRefIlEEKT_Lm4ENS6_16DefaultPtrTraitsEiEENS_6detail16IndexBoundsCheckILm5EiEESD_Lm5ESE_iEENS8_INS9_ISB_SC_Lm4ESE_iEESI_SC_Lm5ESE_iEESJ_iiiiiiiii,comdat
.Lfunc_end22:
	.size	_ZN2at6native12_GLOBAL__N_143conv_depthwise3d_cuda_backward_input_kernelIN3c104HalfEfLi3ELi3ELi3ELi1ELi1ELi1ELi1ELi1ELi1EEEvN5torch10headeronly6detail27GenericPackedTensorAccessorINS7_14TensorAccessorINS3_8ArrayRefIlEEKT_Lm4ENS6_16DefaultPtrTraitsEiEENS_6detail16IndexBoundsCheckILm5EiEESD_Lm5ESE_iEENS8_INS9_ISB_SC_Lm4ESE_iEESI_SC_Lm5ESE_iEESJ_iiiiiiiii, .Lfunc_end22-_ZN2at6native12_GLOBAL__N_143conv_depthwise3d_cuda_backward_input_kernelIN3c104HalfEfLi3ELi3ELi3ELi1ELi1ELi1ELi1ELi1ELi1EEEvN5torch10headeronly6detail27GenericPackedTensorAccessorINS7_14TensorAccessorINS3_8ArrayRefIlEEKT_Lm4ENS6_16DefaultPtrTraitsEiEENS_6detail16IndexBoundsCheckILm5EiEESD_Lm5ESE_iEENS8_INS9_ISB_SC_Lm4ESE_iEESI_SC_Lm5ESE_iEESJ_iiiiiiiii
                                        ; -- End function
	.set _ZN2at6native12_GLOBAL__N_143conv_depthwise3d_cuda_backward_input_kernelIN3c104HalfEfLi3ELi3ELi3ELi1ELi1ELi1ELi1ELi1ELi1EEEvN5torch10headeronly6detail27GenericPackedTensorAccessorINS7_14TensorAccessorINS3_8ArrayRefIlEEKT_Lm4ENS6_16DefaultPtrTraitsEiEENS_6detail16IndexBoundsCheckILm5EiEESD_Lm5ESE_iEENS8_INS9_ISB_SC_Lm4ESE_iEESI_SC_Lm5ESE_iEESJ_iiiiiiiii.num_vgpr, 126
	.set _ZN2at6native12_GLOBAL__N_143conv_depthwise3d_cuda_backward_input_kernelIN3c104HalfEfLi3ELi3ELi3ELi1ELi1ELi1ELi1ELi1ELi1EEEvN5torch10headeronly6detail27GenericPackedTensorAccessorINS7_14TensorAccessorINS3_8ArrayRefIlEEKT_Lm4ENS6_16DefaultPtrTraitsEiEENS_6detail16IndexBoundsCheckILm5EiEESD_Lm5ESE_iEENS8_INS9_ISB_SC_Lm4ESE_iEESI_SC_Lm5ESE_iEESJ_iiiiiiiii.num_agpr, 0
	.set _ZN2at6native12_GLOBAL__N_143conv_depthwise3d_cuda_backward_input_kernelIN3c104HalfEfLi3ELi3ELi3ELi1ELi1ELi1ELi1ELi1ELi1EEEvN5torch10headeronly6detail27GenericPackedTensorAccessorINS7_14TensorAccessorINS3_8ArrayRefIlEEKT_Lm4ENS6_16DefaultPtrTraitsEiEENS_6detail16IndexBoundsCheckILm5EiEESD_Lm5ESE_iEENS8_INS9_ISB_SC_Lm4ESE_iEESI_SC_Lm5ESE_iEESJ_iiiiiiiii.numbered_sgpr, 81
	.set _ZN2at6native12_GLOBAL__N_143conv_depthwise3d_cuda_backward_input_kernelIN3c104HalfEfLi3ELi3ELi3ELi1ELi1ELi1ELi1ELi1ELi1EEEvN5torch10headeronly6detail27GenericPackedTensorAccessorINS7_14TensorAccessorINS3_8ArrayRefIlEEKT_Lm4ENS6_16DefaultPtrTraitsEiEENS_6detail16IndexBoundsCheckILm5EiEESD_Lm5ESE_iEENS8_INS9_ISB_SC_Lm4ESE_iEESI_SC_Lm5ESE_iEESJ_iiiiiiiii.num_named_barrier, 0
	.set _ZN2at6native12_GLOBAL__N_143conv_depthwise3d_cuda_backward_input_kernelIN3c104HalfEfLi3ELi3ELi3ELi1ELi1ELi1ELi1ELi1ELi1EEEvN5torch10headeronly6detail27GenericPackedTensorAccessorINS7_14TensorAccessorINS3_8ArrayRefIlEEKT_Lm4ENS6_16DefaultPtrTraitsEiEENS_6detail16IndexBoundsCheckILm5EiEESD_Lm5ESE_iEENS8_INS9_ISB_SC_Lm4ESE_iEESI_SC_Lm5ESE_iEESJ_iiiiiiiii.private_seg_size, 0
	.set _ZN2at6native12_GLOBAL__N_143conv_depthwise3d_cuda_backward_input_kernelIN3c104HalfEfLi3ELi3ELi3ELi1ELi1ELi1ELi1ELi1ELi1EEEvN5torch10headeronly6detail27GenericPackedTensorAccessorINS7_14TensorAccessorINS3_8ArrayRefIlEEKT_Lm4ENS6_16DefaultPtrTraitsEiEENS_6detail16IndexBoundsCheckILm5EiEESD_Lm5ESE_iEENS8_INS9_ISB_SC_Lm4ESE_iEESI_SC_Lm5ESE_iEESJ_iiiiiiiii.uses_vcc, 1
	.set _ZN2at6native12_GLOBAL__N_143conv_depthwise3d_cuda_backward_input_kernelIN3c104HalfEfLi3ELi3ELi3ELi1ELi1ELi1ELi1ELi1ELi1EEEvN5torch10headeronly6detail27GenericPackedTensorAccessorINS7_14TensorAccessorINS3_8ArrayRefIlEEKT_Lm4ENS6_16DefaultPtrTraitsEiEENS_6detail16IndexBoundsCheckILm5EiEESD_Lm5ESE_iEENS8_INS9_ISB_SC_Lm4ESE_iEESI_SC_Lm5ESE_iEESJ_iiiiiiiii.uses_flat_scratch, 0
	.set _ZN2at6native12_GLOBAL__N_143conv_depthwise3d_cuda_backward_input_kernelIN3c104HalfEfLi3ELi3ELi3ELi1ELi1ELi1ELi1ELi1ELi1EEEvN5torch10headeronly6detail27GenericPackedTensorAccessorINS7_14TensorAccessorINS3_8ArrayRefIlEEKT_Lm4ENS6_16DefaultPtrTraitsEiEENS_6detail16IndexBoundsCheckILm5EiEESD_Lm5ESE_iEENS8_INS9_ISB_SC_Lm4ESE_iEESI_SC_Lm5ESE_iEESJ_iiiiiiiii.has_dyn_sized_stack, 0
	.set _ZN2at6native12_GLOBAL__N_143conv_depthwise3d_cuda_backward_input_kernelIN3c104HalfEfLi3ELi3ELi3ELi1ELi1ELi1ELi1ELi1ELi1EEEvN5torch10headeronly6detail27GenericPackedTensorAccessorINS7_14TensorAccessorINS3_8ArrayRefIlEEKT_Lm4ENS6_16DefaultPtrTraitsEiEENS_6detail16IndexBoundsCheckILm5EiEESD_Lm5ESE_iEENS8_INS9_ISB_SC_Lm4ESE_iEESI_SC_Lm5ESE_iEESJ_iiiiiiiii.has_recursion, 0
	.set _ZN2at6native12_GLOBAL__N_143conv_depthwise3d_cuda_backward_input_kernelIN3c104HalfEfLi3ELi3ELi3ELi1ELi1ELi1ELi1ELi1ELi1EEEvN5torch10headeronly6detail27GenericPackedTensorAccessorINS7_14TensorAccessorINS3_8ArrayRefIlEEKT_Lm4ENS6_16DefaultPtrTraitsEiEENS_6detail16IndexBoundsCheckILm5EiEESD_Lm5ESE_iEENS8_INS9_ISB_SC_Lm4ESE_iEESI_SC_Lm5ESE_iEESJ_iiiiiiiii.has_indirect_call, 0
	.section	.AMDGPU.csdata,"",@progbits
; Kernel info:
; codeLenInByte = 4672
; TotalNumSgprs: 83
; NumVgprs: 126
; ScratchSize: 0
; MemoryBound: 0
; FloatMode: 240
; IeeeMode: 1
; LDSByteSize: 0 bytes/workgroup (compile time only)
; SGPRBlocks: 0
; VGPRBlocks: 7
; NumSGPRsForWavesPerEU: 83
; NumVGPRsForWavesPerEU: 126
; NamedBarCnt: 0
; Occupancy: 8
; WaveLimiterHint : 0
; COMPUTE_PGM_RSRC2:SCRATCH_EN: 0
; COMPUTE_PGM_RSRC2:USER_SGPR: 2
; COMPUTE_PGM_RSRC2:TRAP_HANDLER: 0
; COMPUTE_PGM_RSRC2:TGID_X_EN: 1
; COMPUTE_PGM_RSRC2:TGID_Y_EN: 0
; COMPUTE_PGM_RSRC2:TGID_Z_EN: 0
; COMPUTE_PGM_RSRC2:TIDIG_COMP_CNT: 0
	.section	.text._ZN2at6native12_GLOBAL__N_143conv_depthwise3d_cuda_backward_input_kernelIN3c104HalfEfLi3ELi3ELi3ELi1ELi1ELi1ELin1ELin1ELin1EEEvN5torch10headeronly6detail27GenericPackedTensorAccessorINS7_14TensorAccessorINS3_8ArrayRefIlEEKT_Lm4ENS6_16DefaultPtrTraitsEiEENS_6detail16IndexBoundsCheckILm5EiEESD_Lm5ESE_iEENS8_INS9_ISB_SC_Lm4ESE_iEESI_SC_Lm5ESE_iEESJ_iiiiiiiii,"axG",@progbits,_ZN2at6native12_GLOBAL__N_143conv_depthwise3d_cuda_backward_input_kernelIN3c104HalfEfLi3ELi3ELi3ELi1ELi1ELi1ELin1ELin1ELin1EEEvN5torch10headeronly6detail27GenericPackedTensorAccessorINS7_14TensorAccessorINS3_8ArrayRefIlEEKT_Lm4ENS6_16DefaultPtrTraitsEiEENS_6detail16IndexBoundsCheckILm5EiEESD_Lm5ESE_iEENS8_INS9_ISB_SC_Lm4ESE_iEESI_SC_Lm5ESE_iEESJ_iiiiiiiii,comdat
	.globl	_ZN2at6native12_GLOBAL__N_143conv_depthwise3d_cuda_backward_input_kernelIN3c104HalfEfLi3ELi3ELi3ELi1ELi1ELi1ELin1ELin1ELin1EEEvN5torch10headeronly6detail27GenericPackedTensorAccessorINS7_14TensorAccessorINS3_8ArrayRefIlEEKT_Lm4ENS6_16DefaultPtrTraitsEiEENS_6detail16IndexBoundsCheckILm5EiEESD_Lm5ESE_iEENS8_INS9_ISB_SC_Lm4ESE_iEESI_SC_Lm5ESE_iEESJ_iiiiiiiii ; -- Begin function _ZN2at6native12_GLOBAL__N_143conv_depthwise3d_cuda_backward_input_kernelIN3c104HalfEfLi3ELi3ELi3ELi1ELi1ELi1ELin1ELin1ELin1EEEvN5torch10headeronly6detail27GenericPackedTensorAccessorINS7_14TensorAccessorINS3_8ArrayRefIlEEKT_Lm4ENS6_16DefaultPtrTraitsEiEENS_6detail16IndexBoundsCheckILm5EiEESD_Lm5ESE_iEENS8_INS9_ISB_SC_Lm4ESE_iEESI_SC_Lm5ESE_iEESJ_iiiiiiiii
	.p2align	8
	.type	_ZN2at6native12_GLOBAL__N_143conv_depthwise3d_cuda_backward_input_kernelIN3c104HalfEfLi3ELi3ELi3ELi1ELi1ELi1ELin1ELin1ELin1EEEvN5torch10headeronly6detail27GenericPackedTensorAccessorINS7_14TensorAccessorINS3_8ArrayRefIlEEKT_Lm4ENS6_16DefaultPtrTraitsEiEENS_6detail16IndexBoundsCheckILm5EiEESD_Lm5ESE_iEENS8_INS9_ISB_SC_Lm4ESE_iEESI_SC_Lm5ESE_iEESJ_iiiiiiiii,@function
_ZN2at6native12_GLOBAL__N_143conv_depthwise3d_cuda_backward_input_kernelIN3c104HalfEfLi3ELi3ELi3ELi1ELi1ELi1ELin1ELin1ELin1EEEvN5torch10headeronly6detail27GenericPackedTensorAccessorINS7_14TensorAccessorINS3_8ArrayRefIlEEKT_Lm4ENS6_16DefaultPtrTraitsEiEENS_6detail16IndexBoundsCheckILm5EiEESD_Lm5ESE_iEENS8_INS9_ISB_SC_Lm4ESE_iEESI_SC_Lm5ESE_iEESJ_iiiiiiiii: ; @_ZN2at6native12_GLOBAL__N_143conv_depthwise3d_cuda_backward_input_kernelIN3c104HalfEfLi3ELi3ELi3ELi1ELi1ELi1ELin1ELin1ELin1EEEvN5torch10headeronly6detail27GenericPackedTensorAccessorINS7_14TensorAccessorINS3_8ArrayRefIlEEKT_Lm4ENS6_16DefaultPtrTraitsEiEENS_6detail16IndexBoundsCheckILm5EiEESD_Lm5ESE_iEENS8_INS9_ISB_SC_Lm4ESE_iEESI_SC_Lm5ESE_iEESJ_iiiiiiiii
; %bb.0:
	s_clause 0x2
	s_load_b128 s[36:39], s[0:1], 0x38
	s_load_b32 s2, s[0:1], 0xc4
	s_load_b64 s[30:31], s[0:1], 0x48
	s_bfe_u32 s3, ttmp6, 0x4000c
	s_and_b32 s4, ttmp6, 15
	s_add_co_i32 s3, s3, 1
	s_getreg_b32 s5, hwreg(HW_REG_IB_STS2, 6, 4)
	s_mul_i32 s3, ttmp9, s3
	v_mov_b32_e32 v1, 0
	s_add_co_i32 s4, s4, s3
                                        ; implicit-def: $vgpr126 : SGPR spill to VGPR lane
	s_mov_b32 s53, 0
	s_wait_kmcnt 0x0
	s_abs_i32 s33, s37
	s_and_b32 s2, s2, 0xffff
	s_cmp_eq_u32 s5, 0
	s_cselect_b32 s3, ttmp9, s4
	s_mul_i32 s4, s31, s36
	v_mad_nc_u64_u32 v[2:3], s2, s3, v[0:1]
	s_cvt_f32_u32 s3, s33
	s_ashr_i32 s5, s4, 31
	v_writelane_b32 v126, s4, 0
	s_delay_alu instid0(SALU_CYCLE_1) | instskip(SKIP_1) | instid1(VALU_DEP_3)
	v_rcp_iflag_f32_e32 v0, s3
	v_writelane_b32 v126, s5, 1
	v_cmp_gt_i64_e32 vcc_lo, s[4:5], v[2:3]
	s_delay_alu instid0(TRANS32_DEP_1)
	v_readfirstlane_b32 s3, v0
	s_and_saveexec_b32 s4, vcc_lo
	s_cbranch_execz .LBB23_62
; %bb.1:
	s_clause 0x1
	s_load_b64 s[10:11], s[0:1], 0xa0
	s_load_b128 s[40:43], s[0:1], 0xc
	s_mul_f32 s3, s3, 0x4f7ffffe
	s_sub_co_i32 s8, 0, s33
	s_add_nc_u64 s[6:7], s[0:1], 0xb8
	s_ashr_i32 s9, s37, 31
	s_cvt_u32_f32 s3, s3
	s_mov_b32 s5, s53
                                        ; kill: killed $sgpr0_sgpr1
	s_mov_b32 s13, s53
	s_mov_b32 s73, s53
	s_mul_i32 s4, s8, s3
	s_mov_b32 s75, s53
	s_mul_hi_u32 s4, s3, s4
	s_mov_b32 s77, s53
	s_add_co_i32 s4, s3, s4
	s_mov_b32 s92, s53
	s_load_b128 s[48:51], s[0:1], 0x50
	s_wait_kmcnt 0x0
	v_writelane_b32 v126, s10, 2
	v_writelane_b32 v126, s11, 3
	s_clause 0x1
	s_load_b128 s[44:47], s[0:1], 0x90
	s_load_b32 s10, s[0:1], 0x7c
	s_load_b32 s3, s[6:7], 0x0
	s_wait_kmcnt 0x0
	v_writelane_b32 v126, s10, 4
	s_load_b64 s[10:11], s[0:1], 0x0
	s_abs_i32 s52, s40
	s_delay_alu instid0(SALU_CYCLE_1)
	s_mul_u64 s[4:5], s[52:53], s[4:5]
	s_ashr_i32 s4, s40, 31
	s_mul_i32 s6, s5, s33
	s_xor_b32 s4, s4, s9
	s_sub_co_i32 s6, s52, s6
	s_add_co_i32 s7, s5, 1
	s_mul_i32 s52, s3, s2
	s_wait_kmcnt 0x0
	v_writelane_b32 v126, s10, 5
	v_writelane_b32 v126, s11, 6
	s_clause 0x1
	s_load_b64 s[58:59], s[0:1], 0x1c
	s_load_b64 s[10:11], s[0:1], 0x30
	v_writelane_b32 v126, s9, 7
	s_sub_co_i32 s9, s6, s33
	s_cmp_ge_u32 s6, s33
	s_cselect_b32 s5, s7, s5
	s_cselect_b32 s6, s9, s6
	s_add_co_i32 s7, s5, 1
	s_cmp_ge_u32 s6, s33
	s_wait_kmcnt 0x0
	v_writelane_b32 v126, s10, 8
	v_writelane_b32 v126, s11, 9
	s_load_b64 s[10:11], s[0:1], 0x60
	s_wait_xcnt 0x0
	s_cselect_b32 s0, s7, s5
	s_delay_alu instid0(SALU_CYCLE_1) | instskip(NEXT) | instid1(SALU_CYCLE_1)
	s_xor_b32 s0, s0, s4
	s_sub_co_i32 s40, s0, s4
	v_readfirstlane_b32 s0, v0
	s_cmp_gt_i32 s40, 0
	s_cselect_b32 s1, -1, 0
	s_abs_i32 s80, s30
	s_abs_i32 s81, s39
	s_ashr_i32 s4, s30, 31
	s_cvt_f32_u32 s2, s81
	s_abs_i32 s82, s38
	s_abs_i32 s86, s44
	s_cvt_f32_u32 s3, s82
	v_rcp_iflag_f32_e32 v4, s2
	s_sub_co_i32 s5, 0, s81
	s_cvt_f32_u32 s7, s86
	s_wait_kmcnt 0x0
	v_writelane_b32 v126, s10, 10
	v_rcp_iflag_f32_e32 v5, s3
	s_sub_co_i32 s6, 0, s82
	s_abs_i32 s87, s45
	v_nop
	v_readfirstlane_b32 s3, v4
	v_writelane_b32 v126, s11, 11
	s_mov_b32 s11, s53
	s_abs_i32 s88, s46
	s_mul_f32 s0, s0, 0x4f7ffffe
	s_mul_f32 s3, s3, 0x4f7ffffe
	v_writelane_b32 v126, s1, 12
	s_cvt_f32_u32 s1, s80
	s_cvt_u32_f32 s0, s0
	s_cvt_u32_f32 s3, s3
	s_ashr_i32 s89, s44, 31
	v_rcp_iflag_f32_e32 v0, s1
	v_writelane_b32 v126, s4, 13
	s_ashr_i32 s1, s39, 31
	v_readfirstlane_b32 s4, v5
	s_mul_i32 s5, s5, s3
	s_mul_i32 s8, s8, s0
	v_writelane_b32 v126, s1, 14
	v_readfirstlane_b32 s2, v0
	s_ashr_i32 s1, s38, 31
	s_mul_f32 s4, s4, 0x4f7ffffe
	s_mul_hi_u32 s5, s3, s5
	v_writelane_b32 v126, s1, 15
	s_mul_f32 s2, s2, 0x4f7ffffe
	s_sub_co_i32 s1, 0, s80
	s_cvt_u32_f32 s4, s4
	v_rcp_iflag_f32_e32 v0, s7
	s_cvt_u32_f32 s2, s2
	s_add_co_i32 s12, s3, s5
	s_mul_i32 s6, s6, s4
	s_mov_b32 s5, s53
	s_mul_i32 s1, s1, s2
	s_mul_hi_u32 s3, s0, s8
	s_mul_hi_u32 s1, s2, s1
	s_mov_b32 s7, s53
	s_add_co_i32 s10, s2, s1
	s_mul_hi_u32 s1, s4, s6
	v_writelane_b32 v126, s10, 16
	s_add_co_i32 s4, s4, s1
	s_cvt_f32_u32 s1, s87
	v_readfirstlane_b32 s2, v0
	s_add_co_i32 s6, s0, s3
	v_writelane_b32 v126, s11, 17
	v_rcp_iflag_f32_e32 v0, s1
	s_cvt_f32_u32 s1, s88
	s_mul_f32 s2, s2, 0x4f7ffffe
	s_ashr_i32 s90, s45, 31
	v_writelane_b32 v126, s12, 18
	v_rcp_iflag_f32_e32 v4, s1
	s_cvt_u32_f32 s2, s2
	v_nop
	v_readfirstlane_b32 s1, v0
	s_ashr_i32 s91, s46, 31
	v_writelane_b32 v126, s13, 19
	s_delay_alu instid0(TRANS32_DEP_1) | instskip(SKIP_4) | instid1(SALU_CYCLE_1)
	v_readfirstlane_b32 s3, v4
	s_mul_f32 s1, s1, 0x4f7ffffe
	v_writelane_b32 v126, s4, 20
	v_writelane_b32 v126, s5, 21
	s_sub_co_i32 s4, 0, s86
	s_mul_i32 s4, s4, s2
	s_delay_alu instid0(SALU_CYCLE_1)
	s_mul_hi_u32 s0, s2, s4
	v_writelane_b32 v126, s6, 22
	s_add_co_i32 s72, s2, s0
	s_cvt_u32_f32 s0, s1
	s_mul_f32 s1, s3, 0x4f7ffffe
	s_sub_co_i32 s2, 0, s87
	s_sub_co_i32 s3, 0, s88
	s_mul_i32 s2, s2, s0
	s_cvt_u32_f32 s1, s1
	s_mul_hi_u32 s2, s0, s2
	v_writelane_b32 v126, s7, 23
	s_add_co_i32 s74, s0, s2
	s_mul_i32 s3, s3, s1
	s_delay_alu instid0(SALU_CYCLE_1) | instskip(NEXT) | instid1(SALU_CYCLE_1)
	s_mul_hi_u32 s0, s1, s3
	s_add_co_i32 s76, s1, s0
	s_branch .LBB23_4
.LBB23_2:                               ;   in Loop: Header=BB23_4 Depth=1
	s_or_b32 exec_lo, exec_lo, s93
	s_delay_alu instid0(VALU_DEP_1)
	v_cvt_f16_f32_e32 v0, v73
.LBB23_3:                               ;   in Loop: Header=BB23_4 Depth=1
	v_mul_lo_u32 v4, v69, s31
	v_mul_lo_u32 v6, s48, v70
	;; [unrolled: 1-line block ×3, first 2 shown]
	v_readlane_b32 s0, v126, 8
	v_readlane_b32 s1, v126, 9
	v_mul_lo_u32 v10, s50, v67
	v_mul_lo_u32 v12, s51, v66
	v_add_nc_u64_e32 v[2:3], s[52:53], v[2:3]
	v_dual_ashrrev_i32 v5, 31, v4 :: v_dual_ashrrev_i32 v7, 31, v6
	s_delay_alu instid0(VALU_DEP_4) | instskip(NEXT) | instid1(VALU_DEP_2)
	v_dual_ashrrev_i32 v9, 31, v8 :: v_dual_ashrrev_i32 v11, 31, v10
	v_lshl_add_u64 v[4:5], v[4:5], 1, s[0:1]
	v_readlane_b32 s0, v126, 0
	v_readlane_b32 s1, v126, 1
	v_ashrrev_i32_e32 v13, 31, v12
	s_delay_alu instid0(VALU_DEP_4) | instskip(NEXT) | instid1(VALU_DEP_3)
	v_lshl_add_u64 v[4:5], v[6:7], 1, v[4:5]
	v_cmp_le_i64_e32 vcc_lo, s[0:1], v[2:3]
	s_delay_alu instid0(VALU_DEP_2) | instskip(SKIP_1) | instid1(VALU_DEP_1)
	v_lshl_add_u64 v[4:5], v[8:9], 1, v[4:5]
	s_or_b32 s92, vcc_lo, s92
	v_lshl_add_u64 v[4:5], v[10:11], 1, v[4:5]
	s_delay_alu instid0(VALU_DEP_1)
	v_lshl_add_u64 v[4:5], v[12:13], 1, v[4:5]
	global_store_b16 v[4:5], v0, off
	s_wait_xcnt 0x0
	s_and_not1_b32 exec_lo, exec_lo, s92
	s_cbranch_execz .LBB23_62
.LBB23_4:                               ; =>This Loop Header: Depth=1
                                        ;     Child Loop BB23_7 Depth 2
	v_sub_nc_u32_e32 v0, 0, v2
	v_readlane_b32 s0, v126, 16
	v_readlane_b32 s1, v126, 17
	s_delay_alu instid0(VALU_DEP_3) | instskip(NEXT) | instid1(VALU_DEP_1)
	v_max_i32_e32 v0, v2, v0
	v_mul_u64_e32 v[4:5], s[0:1], v[0:1]
	v_readlane_b32 s0, v126, 13
	s_delay_alu instid0(VALU_DEP_2) | instskip(NEXT) | instid1(VALU_DEP_1)
	v_mul_lo_u32 v4, v5, s80
	v_dual_sub_nc_u32 v0, v0, v4 :: v_dual_add_nc_u32 v4, 1, v5
	s_delay_alu instid0(VALU_DEP_1) | instskip(NEXT) | instid1(VALU_DEP_2)
	v_cmp_le_u32_e32 vcc_lo, s80, v0
	v_cndmask_b32_e32 v4, v5, v4, vcc_lo
	v_subrev_nc_u32_e32 v6, s80, v0
	v_ashrrev_i32_e32 v5, 31, v2
	s_delay_alu instid0(VALU_DEP_2) | instskip(NEXT) | instid1(VALU_DEP_1)
	v_dual_cndmask_b32 v0, v0, v6, vcc_lo :: v_dual_add_nc_u32 v6, 1, v4
	v_cmp_le_u32_e32 vcc_lo, s80, v0
	s_delay_alu instid0(VALU_DEP_3) | instskip(SKIP_3) | instid1(VALU_DEP_1)
	v_xor_b32_e32 v5, s0, v5
	v_readlane_b32 s0, v126, 18
	v_readlane_b32 s1, v126, 19
	v_cndmask_b32_e32 v0, v4, v6, vcc_lo
	v_xor_b32_e32 v0, v0, v5
	s_delay_alu instid0(VALU_DEP_1) | instskip(NEXT) | instid1(VALU_DEP_1)
	v_sub_nc_u32_e32 v6, v0, v5
	v_sub_nc_u32_e32 v0, 0, v6
	s_delay_alu instid0(VALU_DEP_1) | instskip(NEXT) | instid1(VALU_DEP_1)
	v_max_i32_e32 v0, v6, v0
	v_mul_u64_e32 v[4:5], s[0:1], v[0:1]
	v_readlane_b32 s0, v126, 14
	s_delay_alu instid0(VALU_DEP_2) | instskip(NEXT) | instid1(VALU_DEP_1)
	v_mul_lo_u32 v4, v5, s81
	v_dual_sub_nc_u32 v0, v0, v4 :: v_dual_add_nc_u32 v4, 1, v5
	s_delay_alu instid0(VALU_DEP_1) | instskip(SKIP_1) | instid1(VALU_DEP_2)
	v_subrev_nc_u32_e32 v7, s81, v0
	v_cmp_le_u32_e32 vcc_lo, s81, v0
	v_dual_cndmask_b32 v4, v5, v4, vcc_lo :: v_dual_cndmask_b32 v0, v0, v7, vcc_lo
	s_delay_alu instid0(VALU_DEP_1) | instskip(NEXT) | instid1(VALU_DEP_2)
	v_dual_ashrrev_i32 v5, 31, v6 :: v_dual_add_nc_u32 v7, 1, v4
	v_cmp_le_u32_e32 vcc_lo, s81, v0
	s_delay_alu instid0(VALU_DEP_2) | instskip(SKIP_3) | instid1(VALU_DEP_1)
	v_xor_b32_e32 v5, s0, v5
	v_readlane_b32 s0, v126, 20
	v_readlane_b32 s1, v126, 21
	v_cndmask_b32_e32 v0, v4, v7, vcc_lo
	v_xor_b32_e32 v0, v0, v5
	s_delay_alu instid0(VALU_DEP_1) | instskip(NEXT) | instid1(VALU_DEP_1)
	v_sub_nc_u32_e32 v7, v0, v5
	v_sub_nc_u32_e32 v0, 0, v7
	s_delay_alu instid0(VALU_DEP_1) | instskip(NEXT) | instid1(VALU_DEP_1)
	v_max_i32_e32 v0, v7, v0
	v_mul_u64_e32 v[4:5], s[0:1], v[0:1]
	v_readlane_b32 s0, v126, 15
	s_delay_alu instid0(VALU_DEP_2) | instskip(NEXT) | instid1(VALU_DEP_1)
	v_mul_lo_u32 v4, v5, s82
	v_dual_sub_nc_u32 v0, v0, v4 :: v_dual_add_nc_u32 v4, 1, v5
	s_delay_alu instid0(VALU_DEP_1) | instskip(SKIP_1) | instid1(VALU_DEP_3)
	v_subrev_nc_u32_e32 v8, s82, v0
	v_cmp_le_u32_e32 vcc_lo, s82, v0
	v_dual_cndmask_b32 v4, v5, v4 :: v_dual_ashrrev_i32 v5, 31, v7
	s_delay_alu instid0(VALU_DEP_1) | instskip(NEXT) | instid1(VALU_DEP_2)
	v_dual_cndmask_b32 v0, v0, v8, vcc_lo :: v_dual_bitop2_b32 v5, s0, v5 bitop3:0x14
	v_add_nc_u32_e32 v8, 1, v4
	s_delay_alu instid0(VALU_DEP_2) | instskip(SKIP_2) | instid1(VALU_DEP_4)
	v_cmp_le_u32_e32 vcc_lo, s82, v0
	v_readlane_b32 s0, v126, 22
	v_readlane_b32 s1, v126, 23
	v_cndmask_b32_e32 v0, v4, v8, vcc_lo
	s_delay_alu instid0(VALU_DEP_1) | instskip(NEXT) | instid1(VALU_DEP_1)
	v_xor_b32_e32 v0, v0, v5
	v_sub_nc_u32_e32 v8, v0, v5
	s_delay_alu instid0(VALU_DEP_1) | instskip(NEXT) | instid1(VALU_DEP_1)
	v_sub_nc_u32_e32 v0, 0, v8
	v_max_i32_e32 v0, v8, v0
	s_delay_alu instid0(VALU_DEP_1) | instskip(SKIP_1) | instid1(VALU_DEP_2)
	v_mul_u64_e32 v[4:5], s[0:1], v[0:1]
	v_readlane_b32 s0, v126, 7
	v_mul_lo_u32 v4, v5, s33
	s_delay_alu instid0(VALU_DEP_1) | instskip(NEXT) | instid1(VALU_DEP_1)
	v_dual_sub_nc_u32 v0, v0, v4 :: v_dual_add_nc_u32 v4, 1, v5
	v_subrev_nc_u32_e32 v9, s33, v0
	v_cmp_le_u32_e32 vcc_lo, s33, v0
	s_delay_alu instid0(VALU_DEP_2) | instskip(SKIP_1) | instid1(VALU_DEP_2)
	v_dual_cndmask_b32 v4, v5, v4, vcc_lo :: v_dual_cndmask_b32 v0, v0, v9, vcc_lo
	v_ashrrev_i32_e32 v5, 31, v8
	v_add_nc_u32_e32 v9, 1, v4
	s_delay_alu instid0(VALU_DEP_3) | instskip(NEXT) | instid1(VALU_DEP_3)
	v_cmp_le_u32_e32 vcc_lo, s33, v0
	v_xor_b32_e32 v5, s0, v5
	v_readlane_b32 s0, v126, 12
	s_delay_alu instid0(VALU_DEP_4) | instskip(SKIP_2) | instid1(VALU_DEP_1)
	v_cndmask_b32_e32 v0, v4, v9, vcc_lo
	v_mul_lo_u32 v4, v7, s39
	s_and_not1_b32 vcc_lo, exec_lo, s0
	v_dual_sub_nc_u32 v67, v6, v4 :: v_dual_bitop2_b32 v0, v0, v5 bitop3:0x14
	s_delay_alu instid0(VALU_DEP_1) | instskip(SKIP_2) | instid1(VALU_DEP_2)
	v_sub_nc_u32_e32 v69, v0, v5
	v_mul_lo_u32 v0, v6, s30
	v_mul_lo_u32 v5, v8, s38
	v_sub_nc_u32_e32 v66, v2, v0
	s_delay_alu instid0(VALU_DEP_4) | instskip(NEXT) | instid1(VALU_DEP_3)
	v_mul_lo_u32 v9, v69, s37
	v_sub_nc_u32_e32 v68, v7, v5
	s_delay_alu instid0(VALU_DEP_2)
	v_sub_nc_u32_e32 v70, v8, v9
	s_cbranch_vccnz .LBB23_61
; %bb.5:                                ;   in Loop: Header=BB23_4 Depth=1
	v_readlane_b32 s0, v126, 2
	s_delay_alu instid0(VALU_DEP_3) | instskip(SKIP_3) | instid1(VALU_DEP_4)
	v_add_nc_u32_e32 v14, s47, v68
	v_readlane_b32 s1, v126, 3
	v_mul_lo_u32 v71, v70, s40
	v_mul_lo_u32 v12, s58, v69
	v_dual_add_nc_u32 v15, s0, v67 :: v_dual_sub_nc_u32 v0, 0, v14
	v_dual_ashrrev_i32 v13, 31, v14 :: v_dual_sub_nc_u32 v27, 2, v14
	s_delay_alu instid0(VALU_DEP_2) | instskip(NEXT) | instid1(VALU_DEP_3)
	v_dual_add_nc_u32 v23, -1, v14 :: v_dual_sub_nc_u32 v5, 0, v15
	v_dual_add_nc_u32 v17, s1, v66 :: v_dual_max_i32 v0, v14, v0
	v_dual_ashrrev_i32 v18, 31, v15 :: v_dual_sub_nc_u32 v20, 1, v15
	v_add_nc_u32_e32 v26, -2, v14
	s_delay_alu instid0(VALU_DEP_3) | instskip(NEXT) | instid1(VALU_DEP_4)
	v_mul_u64_e32 v[6:7], s[72:73], v[0:1]
	v_dual_ashrrev_i32 v19, 31, v17 :: v_dual_add_nc_u32 v24, -1, v15
	s_delay_alu instid0(VALU_DEP_3) | instskip(SKIP_1) | instid1(VALU_DEP_2)
	v_dual_ashrrev_i32 v34, 31, v23 :: v_dual_ashrrev_i32 v33, 31, v26
	s_mul_i32 s0, s59, s40
	v_dual_ashrrev_i32 v25, 31, v24 :: v_dual_bitop2_b32 v32, s91, v19 bitop3:0x14
	v_dual_sub_nc_u32 v28, 1, v14 :: v_dual_add_nc_u32 v46, -1, v17
	v_dual_sub_nc_u32 v29, 1, v17 :: v_dual_add_nc_u32 v64, -2, v17
	v_dual_sub_nc_u32 v22, 2, v17 :: v_dual_bitop2_b32 v31, s90, v18 bitop3:0x14
	s_delay_alu instid0(VALU_DEP_3) | instskip(SKIP_1) | instid1(VALU_DEP_3)
	v_ashrrev_i32_e32 v35, 31, v46
	s_mov_b32 s93, 0
	v_dual_ashrrev_i32 v36, 31, v64 :: v_dual_add_nc_u32 v16, -2, v15
	v_dual_mov_b32 v73, 0 :: v_dual_bitop2_b32 v30, s89, v13 bitop3:0x14
	s_delay_alu instid0(VALU_DEP_2) | instskip(SKIP_1) | instid1(VALU_DEP_1)
	v_dual_add_nc_u32 v72, s40, v71 :: v_dual_ashrrev_i32 v19, 31, v16
	v_mul_lo_u32 v4, v7, s86
	v_dual_sub_nc_u32 v6, v0, v4 :: v_dual_max_i32 v0, v15, v5
	s_delay_alu instid0(VALU_DEP_1) | instskip(NEXT) | instid1(VALU_DEP_2)
	v_cmp_le_u32_e32 vcc_lo, s86, v6
	v_mul_u64_e32 v[8:9], s[74:75], v[0:1]
	v_subrev_nc_u32_e32 v38, s86, v6
	v_xor_b32_e32 v34, s89, v34
	s_delay_alu instid0(VALU_DEP_2) | instskip(NEXT) | instid1(VALU_DEP_4)
	v_cndmask_b32_e32 v6, v6, v38, vcc_lo
	v_mul_lo_u32 v4, v9, s87
	s_delay_alu instid0(VALU_DEP_1) | instskip(NEXT) | instid1(VALU_DEP_1)
	v_dual_sub_nc_u32 v5, 0, v17 :: v_dual_sub_nc_u32 v8, v0, v4
	v_max_i32_e32 v0, v17, v5
	s_delay_alu instid0(VALU_DEP_1) | instskip(NEXT) | instid1(VALU_DEP_1)
	v_mul_u64_e32 v[10:11], s[76:77], v[0:1]
	v_mul_lo_u32 v4, v11, s88
	s_delay_alu instid0(VALU_DEP_1) | instskip(NEXT) | instid1(VALU_DEP_1)
	v_dual_sub_nc_u32 v5, 2, v15 :: v_dual_sub_nc_u32 v10, v0, v4
	v_max_i32_e32 v0, v16, v5
	s_delay_alu instid0(VALU_DEP_1) | instskip(SKIP_2) | instid1(VALU_DEP_1)
	v_mul_u64_e32 v[4:5], s[74:75], v[0:1]
	v_mul_lo_u32 v4, s0, v70
	v_readlane_b32 s0, v126, 4
	v_mul_lo_u32 v18, s0, v71
	v_readlane_b32 s0, v126, 5
	v_readlane_b32 s1, v126, 6
	v_mul_lo_u32 v13, v5, s87
	s_delay_alu instid0(VALU_DEP_1) | instskip(NEXT) | instid1(VALU_DEP_1)
	v_dual_add_nc_u32 v21, 1, v7 :: v_dual_sub_nc_u32 v37, v0, v13
	v_dual_cndmask_b32 v7, v7, v21 :: v_dual_max_i32 v0, v24, v20
	v_xor_b32_e32 v39, s90, v25
	v_dual_add_nc_u32 v25, 1, v9 :: v_dual_ashrrev_i32 v13, 31, v12
	s_delay_alu instid0(VALU_DEP_3) | instskip(SKIP_3) | instid1(VALU_DEP_2)
	v_mul_u64_e32 v[20:21], s[74:75], v[0:1]
	v_xor_b32_e32 v20, s90, v19
	v_add_nc_u32_e32 v19, 1, v7
	v_cmp_le_u32_e32 vcc_lo, s86, v6
	v_dual_cndmask_b32 v6, v7, v19, vcc_lo :: v_dual_bitop2_b32 v33, s89, v33 bitop3:0x14
	v_subrev_nc_u32_e32 v7, s87, v8
	v_cmp_le_u32_e32 vcc_lo, s87, v8
	v_ashrrev_i32_e32 v19, 31, v18
	s_delay_alu instid0(VALU_DEP_3) | instskip(SKIP_2) | instid1(VALU_DEP_3)
	v_dual_cndmask_b32 v7, v8, v7, vcc_lo :: v_dual_bitop2_b32 v6, v6, v30 bitop3:0x14
	v_dual_cndmask_b32 v9, v9, v25, vcc_lo :: v_dual_bitop2_b32 v25, s91, v35 bitop3:0x14
	v_xor_b32_e32 v48, s91, v36
	v_cmp_le_u32_e32 vcc_lo, s87, v7
	s_delay_alu instid0(VALU_DEP_3) | instskip(NEXT) | instid1(VALU_DEP_1)
	v_dual_add_nc_u32 v8, 1, v9 :: v_dual_sub_nc_u32 v47, v6, v30
	v_dual_cndmask_b32 v7, v9, v8 :: v_dual_add_nc_u32 v6, 1, v11
	v_cmp_le_u32_e32 vcc_lo, s88, v10
	s_delay_alu instid0(VALU_DEP_3) | instskip(SKIP_4) | instid1(VALU_DEP_4)
	v_mul_lo_u32 v30, v47, s44
	v_subrev_nc_u32_e32 v8, s88, v10
	v_mul_lo_u32 v35, v47, s42
	v_cmp_gt_i32_e64 s26, s41, v47
	v_mul_lo_u32 v40, v21, s87
	v_dual_cndmask_b32 v11, v11, v6 :: v_dual_cndmask_b32 v10, v10, v8
	v_xor_b32_e32 v36, v7, v31
	v_lshl_add_u64 v[6:7], v[12:13], 1, s[0:1]
	v_readlane_b32 s0, v126, 10
	v_readlane_b32 s1, v126, 11
	v_add_nc_u32_e32 v38, 1, v11
	v_cmp_le_u32_e32 vcc_lo, s88, v10
	s_delay_alu instid0(VALU_DEP_3)
	v_lshl_add_u64 v[8:9], v[18:19], 1, s[0:1]
	v_cmp_eq_u32_e64 s1, v30, v14
	v_sub_nc_u32_e32 v14, v0, v40
	v_dual_cndmask_b32 v10, v11, v38 :: v_dual_sub_nc_u32 v49, v36, v31
	v_add_nc_u32_e32 v18, 1, v5
	v_cmp_le_u32_e32 vcc_lo, s87, v37
	v_max_i32_e32 v0, v26, v27
	s_delay_alu instid0(VALU_DEP_4) | instskip(SKIP_3) | instid1(VALU_DEP_4)
	v_dual_add_nc_u32 v12, v49, v35 :: v_dual_bitop2_b32 v10, v10, v32 bitop3:0x14
	v_mul_lo_u32 v11, v49, s45
	v_cndmask_b32_e32 v5, v5, v18, vcc_lo
	v_cmp_le_u32_e64 s0, s87, v14
	v_mul_lo_u32 v50, v12, s43
	v_mul_u64_e32 v[12:13], s[72:73], v[0:1]
	v_sub_nc_u32_e32 v30, v10, v32
	v_subrev_nc_u32_e32 v10, s87, v37
	v_add_nc_u32_e32 v12, 1, v5
	v_cmp_gt_i32_e64 s17, s42, v49
	s_delay_alu instid0(VALU_DEP_3) | instskip(SKIP_3) | instid1(VALU_DEP_4)
	v_cndmask_b32_e32 v10, v37, v10, vcc_lo
	v_cmp_eq_u32_e64 s5, v11, v15
	v_mul_lo_u32 v11, v30, s46
	v_cmp_gt_i32_e64 s2, s43, v30
	v_cmp_le_u32_e32 vcc_lo, s87, v10
	v_or_b32_e32 v31, v30, v49
	s_and_b32 s36, s1, s5
	s_and_b32 s12, s2, s17
	s_delay_alu instid0(VALU_DEP_1) | instskip(SKIP_2) | instid1(VALU_DEP_3)
	v_dual_cndmask_b32 v5, v5, v12, vcc_lo :: v_dual_bitop2_b32 v15, v31, v47 bitop3:0x54
	v_add_nc_u32_e32 v10, v30, v50
	v_cmp_eq_u32_e64 s7, v11, v17
	v_dual_add_nc_u32 v12, 1, v21 :: v_dual_bitop2_b32 v5, v5, v20 bitop3:0x14
	s_delay_alu instid0(VALU_DEP_4) | instskip(NEXT) | instid1(VALU_DEP_4)
	v_cmp_lt_i32_e32 vcc_lo, -1, v15
	v_ashrrev_i32_e32 v11, 31, v10
	v_subrev_nc_u32_e32 v15, s87, v14
	s_delay_alu instid0(VALU_DEP_4) | instskip(SKIP_2) | instid1(VALU_DEP_2)
	v_sub_nc_u32_e32 v5, v5, v20
	s_and_b32 s3, s12, vcc_lo
	s_and_b32 vcc_lo, s36, s7
	v_dual_cndmask_b32 v14, v14, v15, s0 :: v_dual_cndmask_b32 v12, v21, v12, s0
	s_delay_alu instid0(VALU_DEP_2) | instskip(SKIP_2) | instid1(VALU_DEP_4)
	v_or_b32_e32 v32, v30, v5
	v_mul_lo_u32 v18, v13, s86
	v_mul_lo_u32 v17, v5, s45
	v_dual_add_nc_u32 v19, v5, v35 :: v_dual_add_nc_u32 v15, 1, v12
	v_cmp_le_u32_e64 s0, s87, v14
	v_or_b32_e32 v20, v32, v47
	v_cmp_gt_i32_e64 s18, s42, v5
	s_delay_alu instid0(VALU_DEP_4)
	v_mul_lo_u32 v51, v19, s43
	s_and_b32 s94, s3, s26
	v_dual_cndmask_b32 v12, v12, v15, s0 :: v_dual_add_nc_u32 v15, 1, v13
	v_dual_sub_nc_u32 v14, v0, v18 :: v_dual_max_i32 v0, v23, v28
	v_cmp_eq_u32_e64 s6, v17, v16
	v_cmp_lt_i32_e64 s0, -1, v20
	s_and_b32 s13, s2, s18
	v_mul_u64_e32 v[16:17], s[72:73], v[0:1]
	v_subrev_nc_u32_e32 v16, s86, v14
	s_and_b32 s3, s13, s0
	v_cmp_le_u32_e64 s0, s86, v14
	v_xor_b32_e32 v12, v12, v39
	s_and_b32 s95, s3, s26
	s_and_b32 s61, s1, s6
	v_dual_cndmask_b32 v13, v13, v15, s0 :: v_dual_cndmask_b32 v14, v14, v16, s0
	s_delay_alu instid0(VALU_DEP_2) | instskip(NEXT) | instid1(VALU_DEP_2)
	v_sub_nc_u32_e32 v52, v12, v39
	v_dual_add_nc_u32 v12, v30, v51 :: v_dual_add_nc_u32 v16, 1, v13
	s_delay_alu instid0(VALU_DEP_3) | instskip(NEXT) | instid1(VALU_DEP_3)
	v_cmp_le_u32_e64 s0, s86, v14
	v_dual_add_nc_u32 v18, v52, v35 :: v_dual_bitop2_b32 v28, v30, v52 bitop3:0x54
	v_mul_lo_u32 v15, v52, s45
	v_cmp_gt_i32_e64 s19, s42, v52
	s_delay_alu instid0(VALU_DEP_3) | instskip(NEXT) | instid1(VALU_DEP_4)
	v_dual_cndmask_b32 v13, v13, v16, s0 :: v_dual_bitop2_b32 v19, v28, v47 bitop3:0x54
	v_mul_lo_u32 v53, v18, s43
	s_and_b32 s0, s61, s7
	s_and_b32 s14, s2, s19
	v_cmp_eq_u32_e64 s8, v15, v24
	v_mul_lo_u32 v20, v17, s86
	s_delay_alu instid0(VALU_DEP_3)
	v_add_nc_u32_e32 v14, v30, v53
	v_dual_ashrrev_i32 v13, 31, v12 :: v_dual_bitop2_b32 v16, v13, v33 bitop3:0x14
	v_cmp_lt_i32_e64 s3, -1, v19
	s_and_b32 s79, s1, s8
	v_dual_ashrrev_i32 v15, 31, v14 :: v_dual_sub_nc_u32 v57, v16, v33
	s_and_b32 s1, s79, s7
	s_and_b32 s2, s14, s3
	s_delay_alu instid0(SALU_CYCLE_1) | instskip(NEXT) | instid1(VALU_DEP_1)
	s_and_b32 s96, s2, s26
	v_mul_lo_u32 v24, v57, s42
	v_or_b32_e32 v19, v32, v57
	s_delay_alu instid0(VALU_DEP_1) | instskip(NEXT) | instid1(VALU_DEP_3)
	v_cmp_lt_i32_e64 s4, -1, v19
	v_add_nc_u32_e32 v19, v49, v24
	v_mul_lo_u32 v21, v57, s44
	v_or_b32_e32 v16, v31, v57
	v_or_b32_e32 v18, v28, v57
	v_cmp_gt_i32_e64 s27, s41, v57
	v_mul_lo_u32 v58, v19, s43
	s_and_b32 s4, s13, s4
	v_cmp_lt_i32_e64 s3, -1, v18
	v_sub_nc_u32_e32 v18, v0, v20
	v_add_nc_u32_e32 v20, v52, v24
	v_cmp_lt_i32_e64 s2, -1, v16
	s_and_b32 s99, s4, s27
	s_and_b32 s10, s14, s3
	v_cmp_le_u32_e64 s3, s86, v18
	v_mul_lo_u32 v59, v20, s43
	s_and_b32 s9, s12, s2
	v_cmp_eq_u32_e64 s2, v21, v26
	v_add_nc_u32_e32 v21, v5, v24
	v_subrev_nc_u32_e32 v24, s86, v18
	v_add_nc_u32_e32 v16, 1, v17
	s_and_b32 s97, s9, s27
	s_and_b32 s98, s10, s27
	v_mul_lo_u32 v61, v21, s43
	s_and_b32 s83, s2, s5
	v_dual_cndmask_b32 v16, v17, v16, s3 :: v_dual_max_i32 v0, v46, v29
	v_cndmask_b32_e64 v17, v18, v24, s3
	s_and_b32 s84, s2, s8
	s_and_b32 s85, s2, s6
	s_delay_alu instid0(VALU_DEP_2)
	v_add_nc_u32_e32 v18, 1, v16
	v_mul_u64_e32 v[26:27], s[76:77], v[0:1]
	v_cmp_le_u32_e64 s3, s86, v17
	s_and_b32 s2, s83, s7
	v_add_nc_u32_e32 v20, v30, v61
	s_and_b32 s4, s85, s7
	v_dual_cndmask_b32 v16, v16, v18, s3 :: v_dual_add_nc_u32 v18, v30, v59
	s_delay_alu instid0(VALU_DEP_2) | instskip(SKIP_1) | instid1(VALU_DEP_2)
	v_ashrrev_i32_e32 v21, 31, v20
	s_and_b32 s3, s84, s7
	v_xor_b32_e32 v17, v16, v34
	v_add_nc_u32_e32 v16, v30, v58
	s_delay_alu instid0(VALU_DEP_1) | instskip(NEXT) | instid1(VALU_DEP_1)
	v_dual_sub_nc_u32 v63, v17, v34 :: v_dual_ashrrev_i32 v17, 31, v16
	v_dual_ashrrev_i32 v19, 31, v18 :: v_dual_bitop2_b32 v24, v31, v63 bitop3:0x54
	v_mul_lo_u32 v29, v63, s44
	v_mul_lo_u32 v31, v63, s42
	v_cmp_gt_i32_e64 s28, s41, v63
	s_delay_alu instid0(VALU_DEP_4)
	v_cmp_lt_i32_e64 s9, -1, v24
	s_and_b32 s12, s12, s9
	v_add_nc_u32_e32 v24, 1, v27
	v_or_b32_e32 v26, v28, v63
	v_or_b32_e32 v28, v32, v63
	v_mul_lo_u32 v32, v27, s88
	v_cmp_eq_u32_e64 s9, v29, v23
	v_add_nc_u32_e32 v23, v49, v31
	v_cmp_lt_i32_e64 s10, -1, v26
	v_add_nc_u32_e32 v26, v52, v31
	s_and_b32 s100, s12, s28
	s_and_b32 s64, s9, s5
	v_mul_lo_u32 v56, v23, s43
	s_and_b32 s10, s14, s10
	v_mul_lo_u32 v60, v26, s43
	s_and_b32 s101, s10, s28
	v_sub_nc_u32_e32 v0, v0, v32
	s_and_b32 s65, s9, s8
	s_and_b32 s66, s9, s6
	;; [unrolled: 1-line block ×3, first 2 shown]
	s_delay_alu instid0(VALU_DEP_1) | instskip(SKIP_1) | instid1(VALU_DEP_1)
	v_cmp_le_u32_e64 s10, s88, v0
	v_subrev_nc_u32_e32 v29, s88, v0
	v_dual_cndmask_b32 v24, v27, v24, s10 :: v_dual_cndmask_b32 v0, v0, v29, s10
	s_delay_alu instid0(VALU_DEP_1) | instskip(SKIP_2) | instid1(VALU_DEP_4)
	v_add_nc_u32_e32 v23, 1, v24
	v_cmp_lt_i32_e64 s11, -1, v28
	v_add_nc_u32_e32 v28, v5, v31
	v_cmp_le_u32_e64 s5, s88, v0
	v_dual_add_nc_u32 v22, v30, v56 :: v_dual_max_i32 v0, v64, v22
	s_and_b32 s11, s13, s11
	v_mul_lo_u32 v62, v28, s43
	v_dual_cndmask_b32 v23, v24, v23, s5 :: v_dual_add_nc_u32 v24, v30, v60
	s_delay_alu instid0(VALU_DEP_3) | instskip(SKIP_2) | instid1(VALU_DEP_2)
	v_mul_u64_e32 v[54:55], s[76:77], v[0:1]
	s_and_b32 s102, s11, s28
	s_and_b32 s5, s64, s7
	v_xor_b32_e32 v23, v23, v25
	s_and_b32 s7, s66, s7
	s_delay_alu instid0(VALU_DEP_1) | instskip(SKIP_1) | instid1(VALU_DEP_2)
	v_dual_add_nc_u32 v26, v30, v62 :: v_dual_sub_nc_u32 v29, v23, v25
	v_dual_ashrrev_i32 v23, 31, v22 :: v_dual_ashrrev_i32 v25, 31, v24
	v_dual_ashrrev_i32 v27, 31, v26 :: v_dual_bitop2_b32 v35, v29, v49 bitop3:0x54
	v_add_nc_u32_e32 v32, v29, v51
	v_mul_lo_u32 v54, v29, s46
	v_dual_add_nc_u32 v36, v29, v60 :: v_dual_add_nc_u32 v40, v29, v58
	s_delay_alu instid0(VALU_DEP_4) | instskip(SKIP_2) | instid1(VALU_DEP_4)
	v_or_b32_e32 v77, v35, v63
	v_cmp_gt_i32_e64 s8, s43, v29
	v_dual_add_nc_u32 v28, v29, v50 :: v_dual_bitop2_b32 v31, v29, v5 bitop3:0x54
	v_ashrrev_i32_e32 v37, 31, v36
	s_delay_alu instid0(VALU_DEP_4)
	v_cmp_lt_i32_e64 s11, -1, v77
	s_and_b32 s21, s8, s17
	v_dual_add_nc_u32 v34, v29, v56 :: v_dual_add_nc_u32 v38, v29, v62
	v_or_b32_e32 v65, v35, v47
	v_or_b32_e32 v76, v35, v57
	v_cmp_eq_u32_e64 s20, v54, v46
	s_and_b32 s56, s21, s11
	v_mul_lo_u32 v82, v55, s88
	v_dual_add_nc_u32 v83, 1, v55 :: v_dual_bitop2_b32 v33, v29, v52 bitop3:0x54
	v_dual_add_nc_u32 v30, v29, v53 :: v_dual_add_nc_u32 v42, v29, v59
	v_dual_add_nc_u32 v44, v29, v61 :: v_dual_ashrrev_i32 v29, 31, v28
	s_and_b32 s22, s8, s19
	s_and_b32 s23, s8, s18
	v_ashrrev_i32_e32 v35, 31, v34
	v_cmp_lt_i32_e64 s8, -1, v65
	v_sub_nc_u32_e32 v0, v0, v82
	v_cmp_lt_i32_e64 s14, -1, v76
	v_or_b32_e32 v74, v33, v47
	v_or_b32_e32 v75, v31, v47
	s_and_b32 s24, s21, s8
	v_subrev_nc_u32_e32 v46, s88, v0
	v_cmp_le_u32_e64 s11, s88, v0
	s_and_b32 s21, s21, s14
	v_dual_ashrrev_i32 v39, 31, v38 :: v_dual_bitop2_b32 v78, v33, v57 bitop3:0x54
	v_dual_ashrrev_i32 v41, 31, v40 :: v_dual_bitop2_b32 v79, v33, v63 bitop3:0x54
	v_dual_cndmask_b32 v54, v55, v83, s11 :: v_dual_cndmask_b32 v0, v0, v46, s11
	v_dual_ashrrev_i32 v43, 31, v42 :: v_dual_bitop2_b32 v80, v31, v63 bitop3:0x54
	v_dual_ashrrev_i32 v45, 31, v44 :: v_dual_bitop2_b32 v81, v31, v57 bitop3:0x54
	s_delay_alu instid0(VALU_DEP_3) | instskip(NEXT) | instid1(VALU_DEP_4)
	v_add_nc_u32_e32 v46, 1, v54
	v_cmp_le_u32_e64 s14, s88, v0
	v_dual_ashrrev_i32 v31, 31, v30 :: v_dual_ashrrev_i32 v33, 31, v32
	v_cmp_lt_i32_e64 s9, -1, v74
	v_cmp_lt_i32_e64 s10, -1, v75
	s_delay_alu instid0(VALU_DEP_4)
	v_cndmask_b32_e64 v0, v54, v46, s14
	v_cmp_lt_i32_e64 s12, -1, v79
	v_cmp_lt_i32_e64 s13, -1, v80
	;; [unrolled: 1-line block ×4, first 2 shown]
	v_xor_b32_e32 v0, v0, v48
	s_and_b32 s25, s22, s9
	s_and_b32 s29, s23, s10
	;; [unrolled: 1-line block ×4, first 2 shown]
	v_sub_nc_u32_e32 v0, v0, v48
	s_and_b32 s22, s22, s15
	s_and_b32 s23, s23, s16
	;; [unrolled: 1-line block ×4, first 2 shown]
	v_or_b32_e32 v49, v0, v49
	s_and_b32 s10, s61, s20
	s_and_b32 s11, s64, s20
	;; [unrolled: 1-line block ×4, first 2 shown]
	v_or_b32_e32 v75, v49, v47
	v_or_b32_e32 v5, v0, v5
	v_dual_add_nc_u32 v48, v0, v53 :: v_dual_bitop2_b32 v55, v0, v52 bitop3:0x54
	v_mul_lo_u32 v65, v0, s46
	s_and_b32 s14, s83, s20
	s_and_b32 s15, s84, s20
	;; [unrolled: 1-line block ×3, first 2 shown]
	v_cmp_gt_i32_e64 s20, s43, v0
	v_dual_add_nc_u32 v46, v0, v50 :: v_dual_add_nc_u32 v50, v0, v51
	v_dual_add_nc_u32 v52, v0, v56 :: v_dual_add_nc_u32 v56, v0, v62
	;; [unrolled: 1-line block ×4, first 2 shown]
	v_or_b32_e32 v0, v49, v57
	v_or_b32_e32 v74, v49, v63
	v_dual_ashrrev_i32 v49, 31, v48 :: v_dual_bitop2_b32 v76, v55, v57 bitop3:0x54
	v_dual_ashrrev_i32 v51, 31, v50 :: v_dual_bitop2_b32 v77, v55, v63 bitop3:0x54
	v_dual_ashrrev_i32 v53, 31, v52 :: v_dual_bitop2_b32 v78, v55, v47 bitop3:0x54
	v_dual_ashrrev_i32 v55, 31, v54 :: v_dual_bitop2_b32 v79, v5, v57 bitop3:0x54
	v_dual_ashrrev_i32 v57, 31, v56 :: v_dual_bitop2_b32 v80, v5, v63 bitop3:0x54
	v_dual_ashrrev_i32 v59, 31, v58 :: v_dual_bitop2_b32 v5, v5, v47 bitop3:0x54
	s_and_b32 s103, s24, s26
	s_and_b32 s104, s25, s26
	;; [unrolled: 1-line block ×9, first 2 shown]
	v_ashrrev_i32_e32 v47, 31, v46
	s_and_b32 s68, s20, s19
	s_and_b32 s69, s20, s18
	v_cmp_lt_i32_e64 s17, -1, v75
	v_cmp_lt_i32_e64 s18, -1, v78
	;; [unrolled: 1-line block ×9, first 2 shown]
	s_and_b32 vcc_hi, s29, s26
	v_cmp_eq_u32_e64 s29, v65, v64
	v_dual_ashrrev_i32 v61, 31, v60 :: v_dual_ashrrev_i32 v63, 31, v62
	s_and_b32 s70, s67, s17
	s_and_b32 s71, s68, s18
	;; [unrolled: 1-line block ×27, first 2 shown]
	s_branch .LBB23_7
.LBB23_6:                               ;   in Loop: Header=BB23_7 Depth=2
	s_wait_xcnt 0x0
	s_or_b32 exec_lo, exec_lo, s26
	s_wait_loadcnt 0x1a
	v_fma_mix_f32 v0, v5, v0, v73 op_sel_hi:[0,1,0]
	v_add_nc_u64_e32 v[8:9], 54, v[8:9]
	v_dual_add_nc_u32 v71, 1, v71 :: v_dual_add_nc_u32 v4, s59, v4
	s_delay_alu instid0(VALU_DEP_3) | instskip(NEXT) | instid1(VALU_DEP_2)
	v_cndmask_b32_e32 v0, v73, v0, vcc_lo
	v_cmp_ge_i32_e64 s26, v71, v72
	s_wait_loadcnt 0x19
	s_delay_alu instid0(VALU_DEP_2) | instskip(SKIP_1) | instid1(VALU_DEP_1)
	v_fma_mix_f32 v5, v76, v74, v0 op_sel_hi:[0,1,0]
	s_or_b32 s93, s26, s93
	v_cndmask_b32_e64 v0, v0, v5, s8
	s_wait_loadcnt 0x18
	s_delay_alu instid0(VALU_DEP_1) | instskip(NEXT) | instid1(VALU_DEP_1)
	v_fma_mix_f32 v5, v75, v77, v0 op_sel_hi:[0,1,0]
	v_cndmask_b32_e64 v0, v0, v5, s17
	s_wait_loadcnt 0x17
	s_delay_alu instid0(VALU_DEP_1) | instskip(NEXT) | instid1(VALU_DEP_1)
	v_fma_mix_f32 v5, v80, v78, v0 op_sel_hi:[0,1,0]
	;; [unrolled: 4-line block ×25, first 2 shown]
	v_cndmask_b32_e64 v73, v0, v5, s25
	s_and_not1_b32 exec_lo, exec_lo, s93
	s_cbranch_execz .LBB23_2
.LBB23_7:                               ;   Parent Loop BB23_4 Depth=1
                                        ; =>  This Inner Loop Header: Depth=2
	global_load_u16 v0, v[8:9], off
	v_ashrrev_i32_e32 v5, 31, v4
	s_delay_alu instid0(VALU_DEP_1)
	v_lshl_add_u64 v[64:65], v[4:5], 1, v[6:7]
	v_mov_b32_e32 v5, 0
	s_wait_xcnt 0x0
	s_and_saveexec_b32 s26, s94
	s_cbranch_execz .LBB23_9
; %bb.8:                                ;   in Loop: Header=BB23_7 Depth=2
	v_lshl_add_u64 v[74:75], v[10:11], 1, v[64:65]
	global_load_u16 v5, v[74:75], off
	s_wait_loadcnt 0x0
	v_cvt_f32_f16_e32 v5, v5
.LBB23_9:                               ;   in Loop: Header=BB23_7 Depth=2
	s_wait_xcnt 0x0
	s_or_b32 exec_lo, exec_lo, s26
	global_load_u16 v74, v[8:9], off offset:2
	v_dual_mov_b32 v75, 0 :: v_dual_mov_b32 v76, 0
	s_wait_xcnt 0x0
	s_and_saveexec_b32 s26, s103
	s_cbranch_execz .LBB23_11
; %bb.10:                               ;   in Loop: Header=BB23_7 Depth=2
	v_lshl_add_u64 v[76:77], v[28:29], 1, v[64:65]
	global_load_u16 v76, v[76:77], off
	s_wait_loadcnt 0x0
	s_wait_xcnt 0x0
	v_cvt_f32_f16_e32 v76, v76
.LBB23_11:                              ;   in Loop: Header=BB23_7 Depth=2
	s_or_b32 exec_lo, exec_lo, s26
	global_load_u16 v77, v[8:9], off offset:4
	s_wait_xcnt 0x0
	s_and_saveexec_b32 s26, s29
	s_cbranch_execz .LBB23_13
; %bb.12:                               ;   in Loop: Header=BB23_7 Depth=2
	v_lshl_add_u64 v[78:79], v[46:47], 1, v[64:65]
	global_load_u16 v75, v[78:79], off
	s_wait_loadcnt 0x0
	v_cvt_f32_f16_e32 v75, v75
.LBB23_13:                              ;   in Loop: Header=BB23_7 Depth=2
	s_wait_xcnt 0x0
	s_or_b32 exec_lo, exec_lo, s26
	global_load_u16 v78, v[8:9], off offset:6
	v_dual_mov_b32 v79, 0 :: v_dual_mov_b32 v80, 0
	s_wait_xcnt 0x0
	s_and_saveexec_b32 s26, s96
	s_cbranch_execz .LBB23_15
; %bb.14:                               ;   in Loop: Header=BB23_7 Depth=2
	v_lshl_add_u64 v[80:81], v[14:15], 1, v[64:65]
	global_load_u16 v80, v[80:81], off
	s_wait_loadcnt 0x0
	s_wait_xcnt 0x0
	v_cvt_f32_f16_e32 v80, v80
.LBB23_15:                              ;   in Loop: Header=BB23_7 Depth=2
	s_or_b32 exec_lo, exec_lo, s26
	global_load_u16 v81, v[8:9], off offset:8
	s_wait_xcnt 0x0
	s_and_saveexec_b32 s26, s104
	s_cbranch_execz .LBB23_17
; %bb.16:                               ;   in Loop: Header=BB23_7 Depth=2
	v_lshl_add_u64 v[82:83], v[30:31], 1, v[64:65]
	global_load_u16 v79, v[82:83], off
	s_wait_loadcnt 0x0
	v_cvt_f32_f16_e32 v79, v79
.LBB23_17:                              ;   in Loop: Header=BB23_7 Depth=2
	;; [unrolled: 25-line block ×3, first 2 shown]
	s_wait_xcnt 0x0
	s_or_b32 exec_lo, exec_lo, s26
	global_load_u16 v86, v[8:9], off offset:14
	v_dual_mov_b32 v87, 0 :: v_dual_mov_b32 v88, 0
	s_wait_xcnt 0x0
	s_and_saveexec_b32 s26, vcc_hi
	s_cbranch_execz .LBB23_23
; %bb.22:                               ;   in Loop: Header=BB23_7 Depth=2
	v_lshl_add_u64 v[88:89], v[32:33], 1, v[64:65]
	global_load_u16 v88, v[88:89], off
	s_wait_loadcnt 0x0
	s_wait_xcnt 0x0
	v_cvt_f32_f16_e32 v88, v88
.LBB23_23:                              ;   in Loop: Header=BB23_7 Depth=2
	s_or_b32 exec_lo, exec_lo, s26
	global_load_u16 v89, v[8:9], off offset:16
	s_wait_xcnt 0x0
	s_and_saveexec_b32 s26, s36
	s_cbranch_execz .LBB23_25
; %bb.24:                               ;   in Loop: Header=BB23_7 Depth=2
	v_lshl_add_u64 v[90:91], v[50:51], 1, v[64:65]
	global_load_u16 v87, v[90:91], off
	s_wait_loadcnt 0x0
	v_cvt_f32_f16_e32 v87, v87
.LBB23_25:                              ;   in Loop: Header=BB23_7 Depth=2
	s_wait_xcnt 0x0
	s_or_b32 exec_lo, exec_lo, s26
	global_load_u16 v90, v[8:9], off offset:18
	v_dual_mov_b32 v91, 0 :: v_dual_mov_b32 v92, 0
	s_wait_xcnt 0x0
	s_and_saveexec_b32 s26, s100
	s_cbranch_execz .LBB23_27
; %bb.26:                               ;   in Loop: Header=BB23_7 Depth=2
	v_lshl_add_u64 v[92:93], v[22:23], 1, v[64:65]
	global_load_u16 v92, v[92:93], off
	s_wait_loadcnt 0x0
	s_wait_xcnt 0x0
	v_cvt_f32_f16_e32 v92, v92
.LBB23_27:                              ;   in Loop: Header=BB23_7 Depth=2
	s_or_b32 exec_lo, exec_lo, s26
	global_load_u16 v93, v[8:9], off offset:20
	s_wait_xcnt 0x0
	s_and_saveexec_b32 s26, s78
	s_cbranch_execz .LBB23_29
; %bb.28:                               ;   in Loop: Header=BB23_7 Depth=2
	v_lshl_add_u64 v[94:95], v[34:35], 1, v[64:65]
	global_load_u16 v91, v[94:95], off
	s_wait_loadcnt 0x0
	v_cvt_f32_f16_e32 v91, v91
.LBB23_29:                              ;   in Loop: Header=BB23_7 Depth=2
	s_wait_xcnt 0x0
	s_or_b32 exec_lo, exec_lo, s26
	global_load_u16 v94, v[8:9], off offset:22
	v_dual_mov_b32 v95, 0 :: v_dual_mov_b32 v96, 0
	s_wait_xcnt 0x0
	s_and_saveexec_b32 s26, s79
	;; [unrolled: 25-line block ×9, first 2 shown]
	s_cbranch_execz .LBB23_59
; %bb.58:                               ;   in Loop: Header=BB23_7 Depth=2
	v_lshl_add_u64 v[124:125], v[44:45], 1, v[64:65]
	global_load_u16 v124, v[124:125], off
	s_wait_loadcnt 0x0
	s_wait_xcnt 0x0
	v_cvt_f32_f16_e32 v124, v124
.LBB23_59:                              ;   in Loop: Header=BB23_7 Depth=2
	s_or_b32 exec_lo, exec_lo, s26
	global_load_u16 v125, v[8:9], off offset:52
	s_wait_xcnt 0x0
	s_and_saveexec_b32 s26, s27
	s_cbranch_execz .LBB23_6
; %bb.60:                               ;   in Loop: Header=BB23_7 Depth=2
	v_lshl_add_u64 v[64:65], v[62:63], 1, v[64:65]
	global_load_u16 v64, v[64:65], off
	s_wait_loadcnt 0x0
	v_cvt_f32_f16_e32 v122, v64
	s_branch .LBB23_6
.LBB23_61:                              ;   in Loop: Header=BB23_4 Depth=1
	v_mov_b32_e32 v0, 0
	s_branch .LBB23_3
.LBB23_62:
	s_sendmsg sendmsg(MSG_DEALLOC_VGPRS)
	s_endpgm
	.section	.rodata,"a",@progbits
	.p2align	6, 0x0
	.amdhsa_kernel _ZN2at6native12_GLOBAL__N_143conv_depthwise3d_cuda_backward_input_kernelIN3c104HalfEfLi3ELi3ELi3ELi1ELi1ELi1ELin1ELin1ELin1EEEvN5torch10headeronly6detail27GenericPackedTensorAccessorINS7_14TensorAccessorINS3_8ArrayRefIlEEKT_Lm4ENS6_16DefaultPtrTraitsEiEENS_6detail16IndexBoundsCheckILm5EiEESD_Lm5ESE_iEENS8_INS9_ISB_SC_Lm4ESE_iEESI_SC_Lm5ESE_iEESJ_iiiiiiiii
		.amdhsa_group_segment_fixed_size 0
		.amdhsa_private_segment_fixed_size 0
		.amdhsa_kernarg_size 440
		.amdhsa_user_sgpr_count 2
		.amdhsa_user_sgpr_dispatch_ptr 0
		.amdhsa_user_sgpr_queue_ptr 0
		.amdhsa_user_sgpr_kernarg_segment_ptr 1
		.amdhsa_user_sgpr_dispatch_id 0
		.amdhsa_user_sgpr_kernarg_preload_length 0
		.amdhsa_user_sgpr_kernarg_preload_offset 0
		.amdhsa_user_sgpr_private_segment_size 0
		.amdhsa_wavefront_size32 1
		.amdhsa_uses_dynamic_stack 0
		.amdhsa_enable_private_segment 0
		.amdhsa_system_sgpr_workgroup_id_x 1
		.amdhsa_system_sgpr_workgroup_id_y 0
		.amdhsa_system_sgpr_workgroup_id_z 0
		.amdhsa_system_sgpr_workgroup_info 0
		.amdhsa_system_vgpr_workitem_id 0
		.amdhsa_next_free_vgpr 127
		.amdhsa_next_free_sgpr 105
		.amdhsa_named_barrier_count 0
		.amdhsa_reserve_vcc 1
		.amdhsa_float_round_mode_32 0
		.amdhsa_float_round_mode_16_64 0
		.amdhsa_float_denorm_mode_32 3
		.amdhsa_float_denorm_mode_16_64 3
		.amdhsa_fp16_overflow 0
		.amdhsa_memory_ordered 1
		.amdhsa_forward_progress 1
		.amdhsa_inst_pref_size 54
		.amdhsa_round_robin_scheduling 0
		.amdhsa_exception_fp_ieee_invalid_op 0
		.amdhsa_exception_fp_denorm_src 0
		.amdhsa_exception_fp_ieee_div_zero 0
		.amdhsa_exception_fp_ieee_overflow 0
		.amdhsa_exception_fp_ieee_underflow 0
		.amdhsa_exception_fp_ieee_inexact 0
		.amdhsa_exception_int_div_zero 0
	.end_amdhsa_kernel
	.section	.text._ZN2at6native12_GLOBAL__N_143conv_depthwise3d_cuda_backward_input_kernelIN3c104HalfEfLi3ELi3ELi3ELi1ELi1ELi1ELin1ELin1ELin1EEEvN5torch10headeronly6detail27GenericPackedTensorAccessorINS7_14TensorAccessorINS3_8ArrayRefIlEEKT_Lm4ENS6_16DefaultPtrTraitsEiEENS_6detail16IndexBoundsCheckILm5EiEESD_Lm5ESE_iEENS8_INS9_ISB_SC_Lm4ESE_iEESI_SC_Lm5ESE_iEESJ_iiiiiiiii,"axG",@progbits,_ZN2at6native12_GLOBAL__N_143conv_depthwise3d_cuda_backward_input_kernelIN3c104HalfEfLi3ELi3ELi3ELi1ELi1ELi1ELin1ELin1ELin1EEEvN5torch10headeronly6detail27GenericPackedTensorAccessorINS7_14TensorAccessorINS3_8ArrayRefIlEEKT_Lm4ENS6_16DefaultPtrTraitsEiEENS_6detail16IndexBoundsCheckILm5EiEESD_Lm5ESE_iEENS8_INS9_ISB_SC_Lm4ESE_iEESI_SC_Lm5ESE_iEESJ_iiiiiiiii,comdat
.Lfunc_end23:
	.size	_ZN2at6native12_GLOBAL__N_143conv_depthwise3d_cuda_backward_input_kernelIN3c104HalfEfLi3ELi3ELi3ELi1ELi1ELi1ELin1ELin1ELin1EEEvN5torch10headeronly6detail27GenericPackedTensorAccessorINS7_14TensorAccessorINS3_8ArrayRefIlEEKT_Lm4ENS6_16DefaultPtrTraitsEiEENS_6detail16IndexBoundsCheckILm5EiEESD_Lm5ESE_iEENS8_INS9_ISB_SC_Lm4ESE_iEESI_SC_Lm5ESE_iEESJ_iiiiiiiii, .Lfunc_end23-_ZN2at6native12_GLOBAL__N_143conv_depthwise3d_cuda_backward_input_kernelIN3c104HalfEfLi3ELi3ELi3ELi1ELi1ELi1ELin1ELin1ELin1EEEvN5torch10headeronly6detail27GenericPackedTensorAccessorINS7_14TensorAccessorINS3_8ArrayRefIlEEKT_Lm4ENS6_16DefaultPtrTraitsEiEENS_6detail16IndexBoundsCheckILm5EiEESD_Lm5ESE_iEENS8_INS9_ISB_SC_Lm4ESE_iEESI_SC_Lm5ESE_iEESJ_iiiiiiiii
                                        ; -- End function
	.set _ZN2at6native12_GLOBAL__N_143conv_depthwise3d_cuda_backward_input_kernelIN3c104HalfEfLi3ELi3ELi3ELi1ELi1ELi1ELin1ELin1ELin1EEEvN5torch10headeronly6detail27GenericPackedTensorAccessorINS7_14TensorAccessorINS3_8ArrayRefIlEEKT_Lm4ENS6_16DefaultPtrTraitsEiEENS_6detail16IndexBoundsCheckILm5EiEESD_Lm5ESE_iEENS8_INS9_ISB_SC_Lm4ESE_iEESI_SC_Lm5ESE_iEESJ_iiiiiiiii.num_vgpr, 127
	.set _ZN2at6native12_GLOBAL__N_143conv_depthwise3d_cuda_backward_input_kernelIN3c104HalfEfLi3ELi3ELi3ELi1ELi1ELi1ELin1ELin1ELin1EEEvN5torch10headeronly6detail27GenericPackedTensorAccessorINS7_14TensorAccessorINS3_8ArrayRefIlEEKT_Lm4ENS6_16DefaultPtrTraitsEiEENS_6detail16IndexBoundsCheckILm5EiEESD_Lm5ESE_iEENS8_INS9_ISB_SC_Lm4ESE_iEESI_SC_Lm5ESE_iEESJ_iiiiiiiii.num_agpr, 0
	.set _ZN2at6native12_GLOBAL__N_143conv_depthwise3d_cuda_backward_input_kernelIN3c104HalfEfLi3ELi3ELi3ELi1ELi1ELi1ELin1ELin1ELin1EEEvN5torch10headeronly6detail27GenericPackedTensorAccessorINS7_14TensorAccessorINS3_8ArrayRefIlEEKT_Lm4ENS6_16DefaultPtrTraitsEiEENS_6detail16IndexBoundsCheckILm5EiEESD_Lm5ESE_iEENS8_INS9_ISB_SC_Lm4ESE_iEESI_SC_Lm5ESE_iEESJ_iiiiiiiii.numbered_sgpr, 105
	.set _ZN2at6native12_GLOBAL__N_143conv_depthwise3d_cuda_backward_input_kernelIN3c104HalfEfLi3ELi3ELi3ELi1ELi1ELi1ELin1ELin1ELin1EEEvN5torch10headeronly6detail27GenericPackedTensorAccessorINS7_14TensorAccessorINS3_8ArrayRefIlEEKT_Lm4ENS6_16DefaultPtrTraitsEiEENS_6detail16IndexBoundsCheckILm5EiEESD_Lm5ESE_iEENS8_INS9_ISB_SC_Lm4ESE_iEESI_SC_Lm5ESE_iEESJ_iiiiiiiii.num_named_barrier, 0
	.set _ZN2at6native12_GLOBAL__N_143conv_depthwise3d_cuda_backward_input_kernelIN3c104HalfEfLi3ELi3ELi3ELi1ELi1ELi1ELin1ELin1ELin1EEEvN5torch10headeronly6detail27GenericPackedTensorAccessorINS7_14TensorAccessorINS3_8ArrayRefIlEEKT_Lm4ENS6_16DefaultPtrTraitsEiEENS_6detail16IndexBoundsCheckILm5EiEESD_Lm5ESE_iEENS8_INS9_ISB_SC_Lm4ESE_iEESI_SC_Lm5ESE_iEESJ_iiiiiiiii.private_seg_size, 0
	.set _ZN2at6native12_GLOBAL__N_143conv_depthwise3d_cuda_backward_input_kernelIN3c104HalfEfLi3ELi3ELi3ELi1ELi1ELi1ELin1ELin1ELin1EEEvN5torch10headeronly6detail27GenericPackedTensorAccessorINS7_14TensorAccessorINS3_8ArrayRefIlEEKT_Lm4ENS6_16DefaultPtrTraitsEiEENS_6detail16IndexBoundsCheckILm5EiEESD_Lm5ESE_iEENS8_INS9_ISB_SC_Lm4ESE_iEESI_SC_Lm5ESE_iEESJ_iiiiiiiii.uses_vcc, 1
	.set _ZN2at6native12_GLOBAL__N_143conv_depthwise3d_cuda_backward_input_kernelIN3c104HalfEfLi3ELi3ELi3ELi1ELi1ELi1ELin1ELin1ELin1EEEvN5torch10headeronly6detail27GenericPackedTensorAccessorINS7_14TensorAccessorINS3_8ArrayRefIlEEKT_Lm4ENS6_16DefaultPtrTraitsEiEENS_6detail16IndexBoundsCheckILm5EiEESD_Lm5ESE_iEENS8_INS9_ISB_SC_Lm4ESE_iEESI_SC_Lm5ESE_iEESJ_iiiiiiiii.uses_flat_scratch, 0
	.set _ZN2at6native12_GLOBAL__N_143conv_depthwise3d_cuda_backward_input_kernelIN3c104HalfEfLi3ELi3ELi3ELi1ELi1ELi1ELin1ELin1ELin1EEEvN5torch10headeronly6detail27GenericPackedTensorAccessorINS7_14TensorAccessorINS3_8ArrayRefIlEEKT_Lm4ENS6_16DefaultPtrTraitsEiEENS_6detail16IndexBoundsCheckILm5EiEESD_Lm5ESE_iEENS8_INS9_ISB_SC_Lm4ESE_iEESI_SC_Lm5ESE_iEESJ_iiiiiiiii.has_dyn_sized_stack, 0
	.set _ZN2at6native12_GLOBAL__N_143conv_depthwise3d_cuda_backward_input_kernelIN3c104HalfEfLi3ELi3ELi3ELi1ELi1ELi1ELin1ELin1ELin1EEEvN5torch10headeronly6detail27GenericPackedTensorAccessorINS7_14TensorAccessorINS3_8ArrayRefIlEEKT_Lm4ENS6_16DefaultPtrTraitsEiEENS_6detail16IndexBoundsCheckILm5EiEESD_Lm5ESE_iEENS8_INS9_ISB_SC_Lm4ESE_iEESI_SC_Lm5ESE_iEESJ_iiiiiiiii.has_recursion, 0
	.set _ZN2at6native12_GLOBAL__N_143conv_depthwise3d_cuda_backward_input_kernelIN3c104HalfEfLi3ELi3ELi3ELi1ELi1ELi1ELin1ELin1ELin1EEEvN5torch10headeronly6detail27GenericPackedTensorAccessorINS7_14TensorAccessorINS3_8ArrayRefIlEEKT_Lm4ENS6_16DefaultPtrTraitsEiEENS_6detail16IndexBoundsCheckILm5EiEESD_Lm5ESE_iEENS8_INS9_ISB_SC_Lm4ESE_iEESI_SC_Lm5ESE_iEESJ_iiiiiiiii.has_indirect_call, 0
	.section	.AMDGPU.csdata,"",@progbits
; Kernel info:
; codeLenInByte = 6824
; TotalNumSgprs: 107
; NumVgprs: 127
; ScratchSize: 0
; MemoryBound: 0
; FloatMode: 240
; IeeeMode: 1
; LDSByteSize: 0 bytes/workgroup (compile time only)
; SGPRBlocks: 0
; VGPRBlocks: 7
; NumSGPRsForWavesPerEU: 107
; NumVGPRsForWavesPerEU: 127
; NamedBarCnt: 0
; Occupancy: 8
; WaveLimiterHint : 0
; COMPUTE_PGM_RSRC2:SCRATCH_EN: 0
; COMPUTE_PGM_RSRC2:USER_SGPR: 2
; COMPUTE_PGM_RSRC2:TRAP_HANDLER: 0
; COMPUTE_PGM_RSRC2:TGID_X_EN: 1
; COMPUTE_PGM_RSRC2:TGID_Y_EN: 0
; COMPUTE_PGM_RSRC2:TGID_Z_EN: 0
; COMPUTE_PGM_RSRC2:TIDIG_COMP_CNT: 0
	.section	.text._ZN2at6native12_GLOBAL__N_143conv_depthwise3d_cuda_backward_input_kernelIN3c104HalfEfLi3ELi3ELi3ELin1ELin1ELin1ELi1ELi1ELi1EEEvN5torch10headeronly6detail27GenericPackedTensorAccessorINS7_14TensorAccessorINS3_8ArrayRefIlEEKT_Lm4ENS6_16DefaultPtrTraitsEiEENS_6detail16IndexBoundsCheckILm5EiEESD_Lm5ESE_iEENS8_INS9_ISB_SC_Lm4ESE_iEESI_SC_Lm5ESE_iEESJ_iiiiiiiii,"axG",@progbits,_ZN2at6native12_GLOBAL__N_143conv_depthwise3d_cuda_backward_input_kernelIN3c104HalfEfLi3ELi3ELi3ELin1ELin1ELin1ELi1ELi1ELi1EEEvN5torch10headeronly6detail27GenericPackedTensorAccessorINS7_14TensorAccessorINS3_8ArrayRefIlEEKT_Lm4ENS6_16DefaultPtrTraitsEiEENS_6detail16IndexBoundsCheckILm5EiEESD_Lm5ESE_iEENS8_INS9_ISB_SC_Lm4ESE_iEESI_SC_Lm5ESE_iEESJ_iiiiiiiii,comdat
	.globl	_ZN2at6native12_GLOBAL__N_143conv_depthwise3d_cuda_backward_input_kernelIN3c104HalfEfLi3ELi3ELi3ELin1ELin1ELin1ELi1ELi1ELi1EEEvN5torch10headeronly6detail27GenericPackedTensorAccessorINS7_14TensorAccessorINS3_8ArrayRefIlEEKT_Lm4ENS6_16DefaultPtrTraitsEiEENS_6detail16IndexBoundsCheckILm5EiEESD_Lm5ESE_iEENS8_INS9_ISB_SC_Lm4ESE_iEESI_SC_Lm5ESE_iEESJ_iiiiiiiii ; -- Begin function _ZN2at6native12_GLOBAL__N_143conv_depthwise3d_cuda_backward_input_kernelIN3c104HalfEfLi3ELi3ELi3ELin1ELin1ELin1ELi1ELi1ELi1EEEvN5torch10headeronly6detail27GenericPackedTensorAccessorINS7_14TensorAccessorINS3_8ArrayRefIlEEKT_Lm4ENS6_16DefaultPtrTraitsEiEENS_6detail16IndexBoundsCheckILm5EiEESD_Lm5ESE_iEENS8_INS9_ISB_SC_Lm4ESE_iEESI_SC_Lm5ESE_iEESJ_iiiiiiiii
	.p2align	8
	.type	_ZN2at6native12_GLOBAL__N_143conv_depthwise3d_cuda_backward_input_kernelIN3c104HalfEfLi3ELi3ELi3ELin1ELin1ELin1ELi1ELi1ELi1EEEvN5torch10headeronly6detail27GenericPackedTensorAccessorINS7_14TensorAccessorINS3_8ArrayRefIlEEKT_Lm4ENS6_16DefaultPtrTraitsEiEENS_6detail16IndexBoundsCheckILm5EiEESD_Lm5ESE_iEENS8_INS9_ISB_SC_Lm4ESE_iEESI_SC_Lm5ESE_iEESJ_iiiiiiiii,@function
_ZN2at6native12_GLOBAL__N_143conv_depthwise3d_cuda_backward_input_kernelIN3c104HalfEfLi3ELi3ELi3ELin1ELin1ELin1ELi1ELi1ELi1EEEvN5torch10headeronly6detail27GenericPackedTensorAccessorINS7_14TensorAccessorINS3_8ArrayRefIlEEKT_Lm4ENS6_16DefaultPtrTraitsEiEENS_6detail16IndexBoundsCheckILm5EiEESD_Lm5ESE_iEENS8_INS9_ISB_SC_Lm4ESE_iEESI_SC_Lm5ESE_iEESJ_iiiiiiiii: ; @_ZN2at6native12_GLOBAL__N_143conv_depthwise3d_cuda_backward_input_kernelIN3c104HalfEfLi3ELi3ELi3ELin1ELin1ELin1ELi1ELi1ELi1EEEvN5torch10headeronly6detail27GenericPackedTensorAccessorINS7_14TensorAccessorINS3_8ArrayRefIlEEKT_Lm4ENS6_16DefaultPtrTraitsEiEENS_6detail16IndexBoundsCheckILm5EiEESD_Lm5ESE_iEENS8_INS9_ISB_SC_Lm4ESE_iEESI_SC_Lm5ESE_iEESJ_iiiiiiiii
; %bb.0:
	s_clause 0x1
	s_load_b128 s[4:7], s[0:1], 0x38
	s_load_b32 s2, s[0:1], 0xc4
	s_bfe_u32 s3, ttmp6, 0x4000c
	s_load_b64 s[20:21], s[0:1], 0x48
	s_add_co_i32 s3, s3, 1
	s_and_b32 s8, ttmp6, 15
	s_mul_i32 s3, ttmp9, s3
	s_getreg_b32 s9, hwreg(HW_REG_IB_STS2, 6, 4)
	v_mov_b32_e32 v1, 0
	s_add_co_i32 s8, s8, s3
	s_mov_b32 s25, 0
	s_wait_kmcnt 0x0
	s_abs_i32 s33, s5
	s_and_b32 s2, s2, 0xffff
	s_cmp_eq_u32 s9, 0
	s_mul_i32 s22, s21, s4
	s_cselect_b32 s3, ttmp9, s8
	s_ashr_i32 s23, s22, 31
	v_mad_nc_u64_u32 v[2:3], s2, s3, v[0:1]
	s_cvt_f32_u32 s3, s33
	s_mov_b32 s4, exec_lo
	s_delay_alu instid0(SALU_CYCLE_2) | instskip(SKIP_1) | instid1(TRANS32_DEP_1)
	v_rcp_iflag_f32_e32 v0, s3
	v_nop
	v_readfirstlane_b32 s3, v0
	s_delay_alu instid0(VALU_DEP_3)
	v_cmpx_gt_i64_e64 s[22:23], v[2:3]
	s_cbranch_execz .LBB24_62
; %bb.1:
	s_clause 0x1
	s_load_b128 s[8:11], s[0:1], 0xc
	s_load_b64 s[28:29], s[0:1], 0x0
	s_mul_f32 s3, s3, 0x4f7ffffe
	s_sub_co_i32 s4, 0, s33
	s_mov_b32 s17, s25
	s_ashr_i32 s46, s5, 31
	s_cvt_u32_f32 s3, s3
	s_add_nc_u64 s[18:19], s[0:1], 0xb8
	s_clause 0x4
	s_load_b64 s[26:27], s[0:1], 0xac
	s_load_b128 s[12:15], s[0:1], 0x9c
	s_load_b32 s47, s[0:1], 0x7c
	s_load_b64 s[30:31], s[0:1], 0x1c
	s_load_b64 s[34:35], s[0:1], 0x30
	s_mul_i32 s16, s4, s3
	s_load_b32 s38, s[18:19], 0x0
	s_mul_hi_u32 s16, s3, s16
	s_mov_b32 s41, s25
	s_add_co_i32 s16, s3, s16
	v_readfirstlane_b32 s3, v0
	s_mov_b32 s43, s25
	s_mov_b32 s45, s25
	;; [unrolled: 1-line block ×3, first 2 shown]
	s_wait_kmcnt 0x0
	s_abs_i32 s24, s8
	s_ashr_i32 s8, s8, 31
	s_mul_u64 s[16:17], s[24:25], s[16:17]
	s_xor_b32 s8, s8, s46
	s_mul_i32 s16, s17, s33
	s_delay_alu instid0(SALU_CYCLE_1)
	s_sub_co_i32 s16, s24, s16
	s_add_co_i32 s24, s17, 1
	s_sub_co_i32 s36, s16, s33
	s_cmp_ge_u32 s16, s33
	s_cselect_b32 s24, s24, s17
	s_cselect_b32 s16, s36, s16
	s_add_co_i32 s39, s24, 1
	s_cmp_ge_u32 s16, s33
	s_clause 0x1
	s_load_b64 s[36:37], s[0:1], 0x60
	s_load_b128 s[16:19], s[0:1], 0x50
	s_wait_xcnt 0x0
	s_cselect_b32 s0, s39, s24
	s_mul_f32 s1, s3, 0x4f7ffffe
	s_xor_b32 s0, s0, s8
	s_mul_i32 s24, s38, s2
	s_sub_co_i32 s8, s0, s8
	s_cvt_u32_f32 s0, s1
	s_cmp_gt_i32 s8, 0
	s_mov_b32 s39, s25
	s_cselect_b32 s48, -1, 0
	s_abs_i32 s49, s20
	s_abs_i32 s51, s6
	s_cvt_f32_u32 s1, s49
	s_abs_i32 s50, s7
	s_cvt_f32_u32 s2, s51
	s_cvt_f32_u32 s3, s50
	v_rcp_iflag_f32_e32 v0, s1
	s_sub_co_i32 s38, 0, s49
	v_rcp_iflag_f32_e32 v5, s2
	v_rcp_iflag_f32_e32 v4, s3
	s_sub_co_i32 s42, 0, s51
	s_sub_co_i32 s40, 0, s50
	s_mul_i32 s4, s4, s0
	v_readfirstlane_b32 s1, v0
	s_lshl_b32 s52, s27, 1
	v_readfirstlane_b32 s3, v5
	v_readfirstlane_b32 s2, v4
	s_lshl_b32 s53, s26, 1
	s_mul_f32 s1, s1, 0x4f7ffffe
	s_lshl_b32 s54, s15, 1
	s_mul_f32 s3, s3, 0x4f7ffffe
	s_mul_f32 s2, s2, 0x4f7ffffe
	s_cvt_u32_f32 s1, s1
	s_ashr_i32 s55, s20, 31
	s_cvt_u32_f32 s3, s3
	s_cvt_u32_f32 s2, s2
	s_mul_i32 s38, s38, s1
	s_ashr_i32 s56, s7, 31
	s_mul_hi_u32 s38, s1, s38
	s_mul_i32 s42, s42, s3
	s_mul_i32 s40, s40, s2
	s_add_co_i32 s38, s1, s38
	s_mul_hi_u32 s1, s3, s42
	s_mul_hi_u32 s40, s2, s40
	s_add_co_i32 s42, s3, s1
	s_mul_hi_u32 s1, s0, s4
	s_add_co_i32 s40, s2, s40
	s_ashr_i32 s57, s6, 31
	s_add_co_i32 s44, s0, s1
	s_mul_i32 s58, s31, s8
	s_branch .LBB24_4
.LBB24_2:                               ;   in Loop: Header=BB24_4 Depth=1
	s_or_b32 exec_lo, exec_lo, s0
	s_delay_alu instid0(VALU_DEP_1)
	v_cvt_f16_f32_e32 v4, v72
.LBB24_3:                               ;   in Loop: Header=BB24_4 Depth=1
	v_mul_lo_u32 v6, v68, s21
	s_wait_kmcnt 0x0
	v_mul_lo_u32 v8, s16, v69
	v_mul_lo_u32 v10, s17, v67
	v_mul_lo_u32 v12, s18, v66
	v_mul_lo_u32 v14, s19, v0
	v_add_nc_u64_e32 v[2:3], s[24:25], v[2:3]
	v_dual_ashrrev_i32 v7, 31, v6 :: v_dual_ashrrev_i32 v9, 31, v8
	s_delay_alu instid0(VALU_DEP_4) | instskip(NEXT) | instid1(VALU_DEP_4)
	v_dual_ashrrev_i32 v11, 31, v10 :: v_dual_ashrrev_i32 v13, 31, v12
	v_ashrrev_i32_e32 v15, 31, v14
	s_delay_alu instid0(VALU_DEP_3) | instskip(SKIP_1) | instid1(VALU_DEP_2)
	v_lshl_add_u64 v[6:7], v[6:7], 1, s[34:35]
	v_cmp_le_i64_e32 vcc_lo, s[22:23], v[2:3]
	v_lshl_add_u64 v[6:7], v[8:9], 1, v[6:7]
	s_or_b32 s59, vcc_lo, s59
	s_delay_alu instid0(VALU_DEP_1) | instskip(NEXT) | instid1(VALU_DEP_1)
	v_lshl_add_u64 v[6:7], v[10:11], 1, v[6:7]
	v_lshl_add_u64 v[6:7], v[12:13], 1, v[6:7]
	s_delay_alu instid0(VALU_DEP_1)
	v_lshl_add_u64 v[6:7], v[14:15], 1, v[6:7]
	global_store_b16 v[6:7], v4, off
	s_wait_xcnt 0x0
	s_and_not1_b32 exec_lo, exec_lo, s59
	s_cbranch_execz .LBB24_62
.LBB24_4:                               ; =>This Loop Header: Depth=1
                                        ;     Child Loop BB24_7 Depth 2
	v_sub_nc_u32_e32 v0, 0, v2
	s_delay_alu instid0(VALU_DEP_1) | instskip(NEXT) | instid1(VALU_DEP_1)
	v_max_i32_e32 v0, v2, v0
	v_mul_u64_e32 v[4:5], s[38:39], v[0:1]
	s_delay_alu instid0(VALU_DEP_1) | instskip(NEXT) | instid1(VALU_DEP_1)
	v_mul_lo_u32 v4, v5, s49
	v_dual_sub_nc_u32 v0, v0, v4 :: v_dual_add_nc_u32 v4, 1, v5
	s_delay_alu instid0(VALU_DEP_1) | instskip(NEXT) | instid1(VALU_DEP_2)
	v_cmp_le_u32_e32 vcc_lo, s49, v0
	v_cndmask_b32_e32 v4, v5, v4, vcc_lo
	v_subrev_nc_u32_e32 v6, s49, v0
	v_ashrrev_i32_e32 v5, 31, v2
	s_delay_alu instid0(VALU_DEP_2) | instskip(NEXT) | instid1(VALU_DEP_1)
	v_dual_cndmask_b32 v0, v0, v6, vcc_lo :: v_dual_add_nc_u32 v6, 1, v4
	v_cmp_le_u32_e32 vcc_lo, s49, v0
	s_delay_alu instid0(VALU_DEP_2) | instskip(NEXT) | instid1(VALU_DEP_1)
	v_dual_cndmask_b32 v0, v4, v6, vcc_lo :: v_dual_bitop2_b32 v5, s55, v5 bitop3:0x14
	v_xor_b32_e32 v0, v0, v5
	s_delay_alu instid0(VALU_DEP_1) | instskip(NEXT) | instid1(VALU_DEP_1)
	v_sub_nc_u32_e32 v6, v0, v5
	v_sub_nc_u32_e32 v0, 0, v6
	s_delay_alu instid0(VALU_DEP_1) | instskip(NEXT) | instid1(VALU_DEP_1)
	v_max_i32_e32 v0, v6, v0
	v_mul_u64_e32 v[4:5], s[40:41], v[0:1]
	s_delay_alu instid0(VALU_DEP_1) | instskip(NEXT) | instid1(VALU_DEP_1)
	v_mul_lo_u32 v4, v5, s50
	v_dual_sub_nc_u32 v0, v0, v4 :: v_dual_add_nc_u32 v4, 1, v5
	s_delay_alu instid0(VALU_DEP_1) | instskip(SKIP_1) | instid1(VALU_DEP_2)
	v_subrev_nc_u32_e32 v7, s50, v0
	v_cmp_le_u32_e32 vcc_lo, s50, v0
	v_dual_cndmask_b32 v4, v5, v4, vcc_lo :: v_dual_cndmask_b32 v0, v0, v7, vcc_lo
	s_delay_alu instid0(VALU_DEP_1) | instskip(NEXT) | instid1(VALU_DEP_2)
	v_dual_ashrrev_i32 v5, 31, v6 :: v_dual_add_nc_u32 v7, 1, v4
	v_cmp_le_u32_e32 vcc_lo, s50, v0
	s_delay_alu instid0(VALU_DEP_2) | instskip(NEXT) | instid1(VALU_DEP_1)
	v_dual_cndmask_b32 v0, v4, v7, vcc_lo :: v_dual_bitop2_b32 v5, s56, v5 bitop3:0x14
	v_xor_b32_e32 v0, v0, v5
	s_delay_alu instid0(VALU_DEP_1) | instskip(NEXT) | instid1(VALU_DEP_1)
	v_sub_nc_u32_e32 v7, v0, v5
	v_sub_nc_u32_e32 v0, 0, v7
	s_delay_alu instid0(VALU_DEP_1) | instskip(NEXT) | instid1(VALU_DEP_1)
	v_max_i32_e32 v0, v7, v0
	v_mul_u64_e32 v[4:5], s[42:43], v[0:1]
	s_delay_alu instid0(VALU_DEP_1) | instskip(NEXT) | instid1(VALU_DEP_1)
	v_mul_lo_u32 v4, v5, s51
	v_dual_sub_nc_u32 v0, v0, v4 :: v_dual_add_nc_u32 v4, 1, v5
	s_delay_alu instid0(VALU_DEP_1) | instskip(SKIP_1) | instid1(VALU_DEP_3)
	v_subrev_nc_u32_e32 v8, s51, v0
	v_cmp_le_u32_e32 vcc_lo, s51, v0
	v_dual_cndmask_b32 v4, v5, v4 :: v_dual_ashrrev_i32 v5, 31, v7
	s_delay_alu instid0(VALU_DEP_1) | instskip(NEXT) | instid1(VALU_DEP_2)
	v_dual_cndmask_b32 v0, v0, v8, vcc_lo :: v_dual_bitop2_b32 v5, s57, v5 bitop3:0x14
	v_add_nc_u32_e32 v8, 1, v4
	s_delay_alu instid0(VALU_DEP_2) | instskip(NEXT) | instid1(VALU_DEP_2)
	v_cmp_le_u32_e32 vcc_lo, s51, v0
	v_cndmask_b32_e32 v0, v4, v8, vcc_lo
	s_delay_alu instid0(VALU_DEP_1) | instskip(NEXT) | instid1(VALU_DEP_1)
	v_xor_b32_e32 v0, v0, v5
	v_sub_nc_u32_e32 v8, v0, v5
	s_delay_alu instid0(VALU_DEP_1) | instskip(NEXT) | instid1(VALU_DEP_1)
	v_sub_nc_u32_e32 v0, 0, v8
	v_max_i32_e32 v0, v8, v0
	s_delay_alu instid0(VALU_DEP_1) | instskip(NEXT) | instid1(VALU_DEP_1)
	v_mul_u64_e32 v[4:5], s[44:45], v[0:1]
	v_mul_lo_u32 v4, v5, s33
	s_delay_alu instid0(VALU_DEP_1) | instskip(NEXT) | instid1(VALU_DEP_1)
	v_dual_sub_nc_u32 v0, v0, v4 :: v_dual_add_nc_u32 v4, 1, v5
	v_subrev_nc_u32_e32 v9, s33, v0
	v_cmp_le_u32_e32 vcc_lo, s33, v0
	s_delay_alu instid0(VALU_DEP_2) | instskip(SKIP_1) | instid1(VALU_DEP_2)
	v_dual_cndmask_b32 v4, v5, v4, vcc_lo :: v_dual_cndmask_b32 v0, v0, v9, vcc_lo
	v_ashrrev_i32_e32 v5, 31, v8
	v_add_nc_u32_e32 v9, 1, v4
	s_delay_alu instid0(VALU_DEP_3) | instskip(NEXT) | instid1(VALU_DEP_3)
	v_cmp_le_u32_e32 vcc_lo, s33, v0
	v_xor_b32_e32 v5, s46, v5
	s_delay_alu instid0(VALU_DEP_3) | instskip(SKIP_2) | instid1(VALU_DEP_1)
	v_cndmask_b32_e32 v0, v4, v9, vcc_lo
	v_mul_lo_u32 v4, v7, s7
	s_and_not1_b32 vcc_lo, exec_lo, s48
	v_dual_sub_nc_u32 v66, v6, v4 :: v_dual_bitop2_b32 v0, v0, v5 bitop3:0x14
	s_delay_alu instid0(VALU_DEP_1) | instskip(SKIP_2) | instid1(VALU_DEP_2)
	v_sub_nc_u32_e32 v68, v0, v5
	v_mul_lo_u32 v0, v6, s20
	v_mul_lo_u32 v5, v8, s6
	v_sub_nc_u32_e32 v0, v2, v0
	s_delay_alu instid0(VALU_DEP_4) | instskip(NEXT) | instid1(VALU_DEP_3)
	v_mul_lo_u32 v9, v68, s5
	v_sub_nc_u32_e32 v67, v7, v5
	s_delay_alu instid0(VALU_DEP_2)
	v_sub_nc_u32_e32 v69, v8, v9
	s_cbranch_vccnz .LBB24_61
; %bb.5:                                ;   in Loop: Header=BB24_4 Depth=1
	s_delay_alu instid0(VALU_DEP_2) | instskip(NEXT) | instid1(VALU_DEP_2)
	v_dual_add_nc_u32 v23, s12, v67 :: v_dual_add_nc_u32 v40, s13, v66
	v_mul_lo_u32 v70, v69, s8
	v_mul_lo_u32 v6, s30, v68
	;; [unrolled: 1-line block ×3, first 2 shown]
	s_delay_alu instid0(VALU_DEP_4)
	v_mul_lo_u32 v18, v23, s10
	v_add_nc_u32_e32 v55, s14, v0
	v_subrev_nc_u32_e32 v41, s54, v23
	v_subrev_nc_u32_e32 v25, s15, v23
	;; [unrolled: 1-line block ×4, first 2 shown]
	v_cmp_gt_i32_e64 s0, s10, v40
	v_cmp_gt_i32_e32 vcc_lo, s9, v23
	v_mul_lo_u32 v8, s47, v70
	v_mul_lo_u32 v34, v25, s10
	;; [unrolled: 1-line block ×3, first 2 shown]
	v_dual_add_nc_u32 v5, v40, v18 :: v_dual_bitop2_b32 v4, v55, v40 bitop3:0x54
	v_ashrrev_i32_e32 v7, 31, v6
	v_subrev_nc_u32_e32 v58, s27, v55
	v_cmp_gt_i32_e64 s1, s11, v55
	s_delay_alu instid0(VALU_DEP_4)
	v_mul_lo_u32 v12, v5, s11
	v_or_b32_e32 v42, v4, v41
	v_or_b32_e32 v24, v4, v25
	v_or_b32_e32 v4, v4, v23
	v_or_b32_e32 v11, v58, v40
	v_dual_add_nc_u32 v16, v44, v18 :: v_dual_bitop2_b32 v15, v55, v44 bitop3:0x54
	v_subrev_nc_u32_e32 v59, s52, v55
	s_delay_alu instid0(VALU_DEP_4)
	v_cmp_lt_i32_e64 s3, -1, v4
	v_add_nc_u32_e32 v18, v48, v18
	s_and_b32 s78, s1, s0
	v_add_nc_u32_e32 v4, v55, v12
	v_or_b32_e32 v10, v11, v23
	v_cmp_gt_i32_e64 s2, s11, v58
	s_and_b32 s3, s78, s3
	v_mul_lo_u32 v31, v18, s11
	v_or_b32_e32 v13, v59, v40
	s_and_b32 s60, s3, vcc_lo
	v_ashrrev_i32_e32 v5, 31, v4
	v_cmp_lt_i32_e64 s3, -1, v10
	v_mul_lo_u32 v20, v16, s11
	s_and_b32 s79, s2, s0
	v_dual_add_nc_u32 v10, v58, v12 :: v_dual_bitop2_b32 v14, v13, v23 bitop3:0x54
	s_and_b32 s3, s79, s3
	v_add_nc_u32_e32 v12, v59, v12
	s_and_b32 s61, s3, vcc_lo
	v_cmp_gt_i32_e64 s3, s11, v59
	v_cmp_lt_i32_e64 s4, -1, v14
	v_or_b32_e32 v14, v15, v23
	v_or_b32_e32 v21, v55, v48
	;; [unrolled: 1-line block ×3, first 2 shown]
	s_and_b32 s80, s3, s0
	v_dual_ashrrev_i32 v11, 31, v10 :: v_dual_bitop2_b32 v27, v11, v25 bitop3:0x54
	v_or_b32_e32 v19, v59, v44
	v_add_nc_u32_e32 v18, v59, v20
	v_or_b32_e32 v17, v58, v44
	s_and_b32 s4, s80, s4
	v_cmp_gt_i32_e64 s0, s10, v44
	s_and_b32 s62, s4, vcc_lo
	v_cmp_lt_i32_e64 s4, -1, v14
	v_or_b32_e32 v22, v19, v23
	v_or_b32_e32 v49, v19, v41
	v_dual_ashrrev_i32 v19, 31, v18 :: v_dual_bitop2_b32 v33, v19, v25 bitop3:0x54
	v_dual_add_nc_u32 v14, v55, v20 :: v_dual_bitop2_b32 v16, v17, v23 bitop3:0x54
	s_and_b32 s81, s1, s0
	v_or_b32_e32 v26, v58, v48
	s_and_b32 s4, s81, s4
	s_and_b32 s82, s2, s0
	s_and_b32 s63, s4, vcc_lo
	v_cmp_lt_i32_e64 s4, -1, v16
	s_and_b32 s83, s3, s0
	v_cmp_gt_i32_e64 s0, s10, v48
	v_or_b32_e32 v30, v15, v25
	v_or_b32_e32 v47, v17, v41
	s_and_b32 s4, s82, s4
	v_dual_add_nc_u32 v37, v40, v34 :: v_dual_bitop2_b32 v28, v59, v48 bitop3:0x54
	s_and_b32 s64, s4, vcc_lo
	v_cmp_lt_i32_e64 s4, -1, v22
	s_and_b32 s84, s1, s0
	s_and_b32 s85, s2, s0
	;; [unrolled: 1-line block ×3, first 2 shown]
	v_cmp_lt_i32_e64 s0, -1, v24
	v_add_nc_u32_e32 v24, v59, v31
	v_dual_ashrrev_i32 v15, 31, v14 :: v_dual_bitop2_b32 v46, v15, v41 bitop3:0x54
	v_or_b32_e32 v22, v26, v23
	v_dual_add_nc_u32 v16, v58, v20 :: v_dual_bitop2_b32 v20, v21, v23 bitop3:0x54
	v_or_b32_e32 v35, v28, v23
	s_and_b32 s4, s83, s4
	s_delay_alu instid0(VALU_DEP_3)
	v_cmp_lt_i32_e64 s1, -1, v22
	s_and_b32 s65, s4, vcc_lo
	v_cmp_lt_i32_e64 s4, -1, v20
	v_dual_add_nc_u32 v20, v55, v31 :: v_dual_add_nc_u32 v22, v58, v31
	s_and_b32 s1, s85, s1
	v_or_b32_e32 v29, v13, v25
	s_and_b32 s67, s1, vcc_lo
	v_cmp_lt_i32_e64 s1, -1, v35
	v_mul_lo_u32 v35, v37, s11
	s_and_b32 s4, s84, s4
	v_add_nc_u32_e32 v31, v44, v34
	s_and_b32 s66, s4, vcc_lo
	s_and_b32 s1, s86, s1
	s_and_b32 s0, s78, s0
	s_and_b32 s68, s1, vcc_lo
	v_cmp_gt_i32_e32 vcc_lo, s9, v25
	v_cmp_lt_i32_e64 s1, -1, v27
	v_or_b32_e32 v32, v17, v25
	v_or_b32_e32 v50, v21, v41
	;; [unrolled: 1-line block ×4, first 2 shown]
	s_and_b32 s69, s0, vcc_lo
	s_and_b32 s0, s79, s1
	v_mul_lo_u32 v39, v31, s11
	v_or_b32_e32 v51, v26, v41
	v_or_b32_e32 v53, v28, v41
	v_dual_add_nc_u32 v26, v55, v35 :: v_dual_bitop2_b32 v37, v28, v25 bitop3:0x54
	v_add_nc_u32_e32 v28, v58, v35
	v_cmp_lt_i32_e64 s1, -1, v30
	v_dual_add_nc_u32 v30, v59, v35 :: v_dual_add_nc_u32 v35, v48, v34
	s_and_b32 s70, s0, vcc_lo
	v_cmp_lt_i32_e64 s0, -1, v29
	v_dual_ashrrev_i32 v29, 31, v28 :: v_dual_add_nc_u32 v34, v58, v39
	s_delay_alu instid0(VALU_DEP_3)
	v_mul_lo_u32 v52, v35, s11
	v_add_nc_u32_e32 v56, v40, v54
	s_and_b32 s0, s80, s0
	v_ashrrev_i32_e32 v9, 31, v8
	s_and_b32 s71, s0, vcc_lo
	s_and_b32 s0, s81, s1
	v_cmp_lt_i32_e64 s1, -1, v33
	s_and_b32 s72, s0, vcc_lo
	v_cmp_lt_i32_e64 s0, -1, v32
	v_ashrrev_i32_e32 v35, 31, v34
	v_mul_lo_u32 v56, v56, s11
	s_and_b32 s3, s83, s1
	v_cmp_lt_i32_e64 s1, -1, v38
	s_and_b32 s0, s82, s0
	v_add_nc_u32_e32 v38, v55, v52
	s_and_b32 s73, s0, vcc_lo
	v_cmp_lt_i32_e64 s0, -1, v36
	v_add_nc_u32_e32 v36, v59, v39
	v_cmp_lt_i32_e64 s2, -1, v37
	v_dual_ashrrev_i32 v17, 31, v16 :: v_dual_bitop2_b32 v45, v13, v41 bitop3:0x54
	s_and_b32 s0, s84, s0
	v_ashrrev_i32_e32 v25, 31, v24
	s_and_b32 s75, s0, vcc_lo
	s_and_b32 s0, s85, s1
	v_cmp_lt_i32_e64 s1, -1, v42
	s_and_b32 s76, s0, vcc_lo
	v_cmp_gt_i32_e64 s0, s9, v41
	s_and_b32 s2, s86, s2
	s_and_b32 s74, s3, vcc_lo
	s_and_b32 s1, s78, s1
	s_and_b32 s77, s2, vcc_lo
	s_and_b32 s78, s1, s0
	v_cmp_lt_i32_e32 vcc_lo, -1, v45
	v_dual_add_nc_u32 v45, v44, v54 :: v_dual_add_nc_u32 v44, v55, v56
	v_cmp_lt_i32_e64 s1, -1, v46
	v_cmp_lt_i32_e64 s4, -1, v49
	v_dual_add_nc_u32 v46, v58, v56 :: v_dual_add_nc_u32 v49, v48, v54
	s_delay_alu instid0(VALU_DEP_4)
	v_mul_lo_u32 v57, v45, s11
	v_ashrrev_i32_e32 v13, 31, v12
	v_cmp_lt_i32_e64 s3, -1, v43
	v_cmp_lt_i32_e64 s2, -1, v47
	v_mul_lo_u32 v60, v49, s11
	s_and_b32 s1, s81, s1
	v_add_nc_u32_e32 v32, v55, v39
	s_and_b32 s3, s79, s3
	s_and_b32 s81, s1, s0
	;; [unrolled: 1-line block ×3, first 2 shown]
	s_and_b32 s3, s80, vcc_lo
	s_and_b32 s1, s82, s2
	v_dual_add_nc_u32 v40, v58, v52 :: v_dual_add_nc_u32 v42, v59, v52
	v_cmp_lt_i32_e32 vcc_lo, -1, v50
	v_add_nc_u32_e32 v50, v55, v57
	v_dual_add_nc_u32 v48, v59, v56 :: v_dual_add_nc_u32 v52, v58, v57
	v_add_nc_u32_e32 v54, v59, v57
	v_dual_add_nc_u32 v56, v55, v60 :: v_dual_add_nc_u32 v58, v58, v60
	v_dual_add_nc_u32 v60, v59, v60 :: v_dual_add_nc_u32 v71, s8, v70
	s_and_b32 s80, s3, s0
	v_cmp_lt_i32_e64 s3, -1, v51
	s_and_b32 s2, s1, s0
	v_cmp_lt_i32_e64 s1, -1, v53
	v_lshl_add_u64 v[6:7], v[6:7], 1, s[28:29]
	s_wait_kmcnt 0x0
	v_lshl_add_u64 v[8:9], v[8:9], 1, s[36:37]
	v_dual_ashrrev_i32 v21, 31, v20 :: v_dual_ashrrev_i32 v23, 31, v22
	v_ashrrev_i32_e32 v27, 31, v26
	v_dual_ashrrev_i32 v31, 31, v30 :: v_dual_ashrrev_i32 v33, 31, v32
	v_dual_ashrrev_i32 v37, 31, v36 :: v_dual_ashrrev_i32 v39, 31, v38
	v_dual_ashrrev_i32 v41, 31, v40 :: v_dual_ashrrev_i32 v43, 31, v42
	v_dual_ashrrev_i32 v45, 31, v44 :: v_dual_ashrrev_i32 v47, 31, v46
	v_dual_ashrrev_i32 v51, 31, v50 :: v_dual_ashrrev_i32 v49, 31, v48
	v_dual_ashrrev_i32 v53, 31, v52 :: v_dual_ashrrev_i32 v55, 31, v54
	v_dual_ashrrev_i32 v57, 31, v56 :: v_dual_ashrrev_i32 v59, 31, v58
	v_dual_mov_b32 v72, 0 :: v_dual_ashrrev_i32 v61, 31, v60
	s_and_b32 s4, s83, s4
	s_and_b32 s82, s84, vcc_lo
	s_and_b32 s3, s85, s3
	s_and_b32 s83, s86, s1
	;; [unrolled: 1-line block ×6, first 2 shown]
	s_mov_b32 s0, 0
	s_branch .LBB24_7
.LBB24_6:                               ;   in Loop: Header=BB24_7 Depth=2
	s_wait_xcnt 0x0
	s_or_b32 exec_lo, exec_lo, s83
	s_wait_loadcnt 0x1a
	v_fma_mix_f32 v63, v63, v73, v72 op_sel_hi:[0,1,0]
	v_add_nc_u32_e32 v70, 1, v70
	v_add_nc_u64_e32 v[8:9], 54, v[8:9]
	v_add_nc_u32_e32 v62, s31, v62
	s_wait_loadcnt 0x19
	v_fma_mix_f32 v63, v76, v74, v63 op_sel_hi:[0,1,0]
	v_cmp_ge_i32_e32 vcc_lo, v70, v71
	s_wait_loadcnt 0x18
	s_delay_alu instid0(VALU_DEP_2) | instskip(SKIP_2) | instid1(VALU_DEP_1)
	v_fma_mix_f32 v63, v75, v77, v63 op_sel_hi:[0,1,0]
	s_or_b32 s0, vcc_lo, s0
	s_wait_loadcnt 0x17
	v_fma_mix_f32 v63, v80, v78, v63 op_sel_hi:[0,1,0]
	s_wait_loadcnt 0x16
	s_delay_alu instid0(VALU_DEP_1) | instskip(SKIP_1) | instid1(VALU_DEP_1)
	v_fma_mix_f32 v63, v79, v81, v63 op_sel_hi:[0,1,0]
	s_wait_loadcnt 0x15
	v_fma_mix_f32 v63, v84, v82, v63 op_sel_hi:[0,1,0]
	s_wait_loadcnt 0x14
	s_delay_alu instid0(VALU_DEP_1) | instskip(SKIP_1) | instid1(VALU_DEP_1)
	v_fma_mix_f32 v63, v83, v85, v63 op_sel_hi:[0,1,0]
	;; [unrolled: 5-line block ×11, first 2 shown]
	s_wait_loadcnt 0x1
	v_fma_mix_f32 v63, v124, v122, v63 op_sel_hi:[0,1,0]
	s_wait_loadcnt 0x0
	s_delay_alu instid0(VALU_DEP_1)
	v_fma_mix_f32 v72, v123, v125, v63 op_sel_hi:[0,1,0]
	s_and_not1_b32 exec_lo, exec_lo, s0
	s_cbranch_execz .LBB24_2
.LBB24_7:                               ;   Parent Loop BB24_4 Depth=1
                                        ; =>  This Inner Loop Header: Depth=2
	global_load_u16 v73, v[8:9], off
	v_ashrrev_i32_e32 v63, 31, v62
	s_delay_alu instid0(VALU_DEP_1)
	v_lshl_add_u64 v[64:65], v[62:63], 1, v[6:7]
	v_mov_b32_e32 v63, 0
	s_wait_xcnt 0x0
	s_and_saveexec_b32 s83, s60
	s_cbranch_execz .LBB24_9
; %bb.8:                                ;   in Loop: Header=BB24_7 Depth=2
	v_lshl_add_u64 v[74:75], v[4:5], 1, v[64:65]
	global_load_u16 v63, v[74:75], off
	s_wait_loadcnt 0x0
	v_cvt_f32_f16_e32 v63, v63
.LBB24_9:                               ;   in Loop: Header=BB24_7 Depth=2
	s_wait_xcnt 0x0
	s_or_b32 exec_lo, exec_lo, s83
	global_load_u16 v74, v[8:9], off offset:2
	v_dual_mov_b32 v75, 0 :: v_dual_mov_b32 v76, 0
	s_wait_xcnt 0x0
	s_and_saveexec_b32 s83, s61
	s_cbranch_execz .LBB24_11
; %bb.10:                               ;   in Loop: Header=BB24_7 Depth=2
	v_lshl_add_u64 v[76:77], v[10:11], 1, v[64:65]
	global_load_u16 v76, v[76:77], off
	s_wait_loadcnt 0x0
	s_wait_xcnt 0x0
	v_cvt_f32_f16_e32 v76, v76
.LBB24_11:                              ;   in Loop: Header=BB24_7 Depth=2
	s_or_b32 exec_lo, exec_lo, s83
	global_load_u16 v77, v[8:9], off offset:4
	s_wait_xcnt 0x0
	s_and_saveexec_b32 s83, s62
	s_cbranch_execz .LBB24_13
; %bb.12:                               ;   in Loop: Header=BB24_7 Depth=2
	v_lshl_add_u64 v[78:79], v[12:13], 1, v[64:65]
	global_load_u16 v75, v[78:79], off
	s_wait_loadcnt 0x0
	v_cvt_f32_f16_e32 v75, v75
.LBB24_13:                              ;   in Loop: Header=BB24_7 Depth=2
	s_wait_xcnt 0x0
	s_or_b32 exec_lo, exec_lo, s83
	global_load_u16 v78, v[8:9], off offset:6
	v_dual_mov_b32 v79, 0 :: v_dual_mov_b32 v80, 0
	s_wait_xcnt 0x0
	s_and_saveexec_b32 s83, s63
	s_cbranch_execz .LBB24_15
; %bb.14:                               ;   in Loop: Header=BB24_7 Depth=2
	v_lshl_add_u64 v[80:81], v[14:15], 1, v[64:65]
	global_load_u16 v80, v[80:81], off
	s_wait_loadcnt 0x0
	s_wait_xcnt 0x0
	v_cvt_f32_f16_e32 v80, v80
.LBB24_15:                              ;   in Loop: Header=BB24_7 Depth=2
	s_or_b32 exec_lo, exec_lo, s83
	global_load_u16 v81, v[8:9], off offset:8
	s_wait_xcnt 0x0
	s_and_saveexec_b32 s83, s64
	s_cbranch_execz .LBB24_17
; %bb.16:                               ;   in Loop: Header=BB24_7 Depth=2
	v_lshl_add_u64 v[82:83], v[16:17], 1, v[64:65]
	global_load_u16 v79, v[82:83], off
	s_wait_loadcnt 0x0
	v_cvt_f32_f16_e32 v79, v79
.LBB24_17:                              ;   in Loop: Header=BB24_7 Depth=2
	;; [unrolled: 25-line block ×12, first 2 shown]
	s_wait_xcnt 0x0
	s_or_b32 exec_lo, exec_lo, s83
	global_load_u16 v122, v[8:9], off offset:50
	v_dual_mov_b32 v123, 0 :: v_dual_mov_b32 v124, 0
	s_wait_xcnt 0x0
	s_and_saveexec_b32 s83, s1
	s_cbranch_execz .LBB24_59
; %bb.58:                               ;   in Loop: Header=BB24_7 Depth=2
	v_lshl_add_u64 v[124:125], v[58:59], 1, v[64:65]
	global_load_u16 v124, v[124:125], off
	s_wait_loadcnt 0x0
	s_wait_xcnt 0x0
	v_cvt_f32_f16_e32 v124, v124
.LBB24_59:                              ;   in Loop: Header=BB24_7 Depth=2
	s_or_b32 exec_lo, exec_lo, s83
	global_load_u16 v125, v[8:9], off offset:52
	s_wait_xcnt 0x0
	s_and_saveexec_b32 s83, s3
	s_cbranch_execz .LBB24_6
; %bb.60:                               ;   in Loop: Header=BB24_7 Depth=2
	v_lshl_add_u64 v[64:65], v[60:61], 1, v[64:65]
	global_load_u16 v64, v[64:65], off
	s_wait_loadcnt 0x0
	v_cvt_f32_f16_e32 v123, v64
	s_branch .LBB24_6
.LBB24_61:                              ;   in Loop: Header=BB24_4 Depth=1
	v_mov_b32_e32 v4, 0
	s_branch .LBB24_3
.LBB24_62:
	s_sendmsg sendmsg(MSG_DEALLOC_VGPRS)
	s_endpgm
	.section	.rodata,"a",@progbits
	.p2align	6, 0x0
	.amdhsa_kernel _ZN2at6native12_GLOBAL__N_143conv_depthwise3d_cuda_backward_input_kernelIN3c104HalfEfLi3ELi3ELi3ELin1ELin1ELin1ELi1ELi1ELi1EEEvN5torch10headeronly6detail27GenericPackedTensorAccessorINS7_14TensorAccessorINS3_8ArrayRefIlEEKT_Lm4ENS6_16DefaultPtrTraitsEiEENS_6detail16IndexBoundsCheckILm5EiEESD_Lm5ESE_iEENS8_INS9_ISB_SC_Lm4ESE_iEESI_SC_Lm5ESE_iEESJ_iiiiiiiii
		.amdhsa_group_segment_fixed_size 0
		.amdhsa_private_segment_fixed_size 0
		.amdhsa_kernarg_size 440
		.amdhsa_user_sgpr_count 2
		.amdhsa_user_sgpr_dispatch_ptr 0
		.amdhsa_user_sgpr_queue_ptr 0
		.amdhsa_user_sgpr_kernarg_segment_ptr 1
		.amdhsa_user_sgpr_dispatch_id 0
		.amdhsa_user_sgpr_kernarg_preload_length 0
		.amdhsa_user_sgpr_kernarg_preload_offset 0
		.amdhsa_user_sgpr_private_segment_size 0
		.amdhsa_wavefront_size32 1
		.amdhsa_uses_dynamic_stack 0
		.amdhsa_enable_private_segment 0
		.amdhsa_system_sgpr_workgroup_id_x 1
		.amdhsa_system_sgpr_workgroup_id_y 0
		.amdhsa_system_sgpr_workgroup_id_z 0
		.amdhsa_system_sgpr_workgroup_info 0
		.amdhsa_system_vgpr_workitem_id 0
		.amdhsa_next_free_vgpr 126
		.amdhsa_next_free_sgpr 87
		.amdhsa_named_barrier_count 0
		.amdhsa_reserve_vcc 1
		.amdhsa_float_round_mode_32 0
		.amdhsa_float_round_mode_16_64 0
		.amdhsa_float_denorm_mode_32 3
		.amdhsa_float_denorm_mode_16_64 3
		.amdhsa_fp16_overflow 0
		.amdhsa_memory_ordered 1
		.amdhsa_forward_progress 1
		.amdhsa_inst_pref_size 37
		.amdhsa_round_robin_scheduling 0
		.amdhsa_exception_fp_ieee_invalid_op 0
		.amdhsa_exception_fp_denorm_src 0
		.amdhsa_exception_fp_ieee_div_zero 0
		.amdhsa_exception_fp_ieee_overflow 0
		.amdhsa_exception_fp_ieee_underflow 0
		.amdhsa_exception_fp_ieee_inexact 0
		.amdhsa_exception_int_div_zero 0
	.end_amdhsa_kernel
	.section	.text._ZN2at6native12_GLOBAL__N_143conv_depthwise3d_cuda_backward_input_kernelIN3c104HalfEfLi3ELi3ELi3ELin1ELin1ELin1ELi1ELi1ELi1EEEvN5torch10headeronly6detail27GenericPackedTensorAccessorINS7_14TensorAccessorINS3_8ArrayRefIlEEKT_Lm4ENS6_16DefaultPtrTraitsEiEENS_6detail16IndexBoundsCheckILm5EiEESD_Lm5ESE_iEENS8_INS9_ISB_SC_Lm4ESE_iEESI_SC_Lm5ESE_iEESJ_iiiiiiiii,"axG",@progbits,_ZN2at6native12_GLOBAL__N_143conv_depthwise3d_cuda_backward_input_kernelIN3c104HalfEfLi3ELi3ELi3ELin1ELin1ELin1ELi1ELi1ELi1EEEvN5torch10headeronly6detail27GenericPackedTensorAccessorINS7_14TensorAccessorINS3_8ArrayRefIlEEKT_Lm4ENS6_16DefaultPtrTraitsEiEENS_6detail16IndexBoundsCheckILm5EiEESD_Lm5ESE_iEENS8_INS9_ISB_SC_Lm4ESE_iEESI_SC_Lm5ESE_iEESJ_iiiiiiiii,comdat
.Lfunc_end24:
	.size	_ZN2at6native12_GLOBAL__N_143conv_depthwise3d_cuda_backward_input_kernelIN3c104HalfEfLi3ELi3ELi3ELin1ELin1ELin1ELi1ELi1ELi1EEEvN5torch10headeronly6detail27GenericPackedTensorAccessorINS7_14TensorAccessorINS3_8ArrayRefIlEEKT_Lm4ENS6_16DefaultPtrTraitsEiEENS_6detail16IndexBoundsCheckILm5EiEESD_Lm5ESE_iEENS8_INS9_ISB_SC_Lm4ESE_iEESI_SC_Lm5ESE_iEESJ_iiiiiiiii, .Lfunc_end24-_ZN2at6native12_GLOBAL__N_143conv_depthwise3d_cuda_backward_input_kernelIN3c104HalfEfLi3ELi3ELi3ELin1ELin1ELin1ELi1ELi1ELi1EEEvN5torch10headeronly6detail27GenericPackedTensorAccessorINS7_14TensorAccessorINS3_8ArrayRefIlEEKT_Lm4ENS6_16DefaultPtrTraitsEiEENS_6detail16IndexBoundsCheckILm5EiEESD_Lm5ESE_iEENS8_INS9_ISB_SC_Lm4ESE_iEESI_SC_Lm5ESE_iEESJ_iiiiiiiii
                                        ; -- End function
	.set _ZN2at6native12_GLOBAL__N_143conv_depthwise3d_cuda_backward_input_kernelIN3c104HalfEfLi3ELi3ELi3ELin1ELin1ELin1ELi1ELi1ELi1EEEvN5torch10headeronly6detail27GenericPackedTensorAccessorINS7_14TensorAccessorINS3_8ArrayRefIlEEKT_Lm4ENS6_16DefaultPtrTraitsEiEENS_6detail16IndexBoundsCheckILm5EiEESD_Lm5ESE_iEENS8_INS9_ISB_SC_Lm4ESE_iEESI_SC_Lm5ESE_iEESJ_iiiiiiiii.num_vgpr, 126
	.set _ZN2at6native12_GLOBAL__N_143conv_depthwise3d_cuda_backward_input_kernelIN3c104HalfEfLi3ELi3ELi3ELin1ELin1ELin1ELi1ELi1ELi1EEEvN5torch10headeronly6detail27GenericPackedTensorAccessorINS7_14TensorAccessorINS3_8ArrayRefIlEEKT_Lm4ENS6_16DefaultPtrTraitsEiEENS_6detail16IndexBoundsCheckILm5EiEESD_Lm5ESE_iEENS8_INS9_ISB_SC_Lm4ESE_iEESI_SC_Lm5ESE_iEESJ_iiiiiiiii.num_agpr, 0
	.set _ZN2at6native12_GLOBAL__N_143conv_depthwise3d_cuda_backward_input_kernelIN3c104HalfEfLi3ELi3ELi3ELin1ELin1ELin1ELi1ELi1ELi1EEEvN5torch10headeronly6detail27GenericPackedTensorAccessorINS7_14TensorAccessorINS3_8ArrayRefIlEEKT_Lm4ENS6_16DefaultPtrTraitsEiEENS_6detail16IndexBoundsCheckILm5EiEESD_Lm5ESE_iEENS8_INS9_ISB_SC_Lm4ESE_iEESI_SC_Lm5ESE_iEESJ_iiiiiiiii.numbered_sgpr, 87
	.set _ZN2at6native12_GLOBAL__N_143conv_depthwise3d_cuda_backward_input_kernelIN3c104HalfEfLi3ELi3ELi3ELin1ELin1ELin1ELi1ELi1ELi1EEEvN5torch10headeronly6detail27GenericPackedTensorAccessorINS7_14TensorAccessorINS3_8ArrayRefIlEEKT_Lm4ENS6_16DefaultPtrTraitsEiEENS_6detail16IndexBoundsCheckILm5EiEESD_Lm5ESE_iEENS8_INS9_ISB_SC_Lm4ESE_iEESI_SC_Lm5ESE_iEESJ_iiiiiiiii.num_named_barrier, 0
	.set _ZN2at6native12_GLOBAL__N_143conv_depthwise3d_cuda_backward_input_kernelIN3c104HalfEfLi3ELi3ELi3ELin1ELin1ELin1ELi1ELi1ELi1EEEvN5torch10headeronly6detail27GenericPackedTensorAccessorINS7_14TensorAccessorINS3_8ArrayRefIlEEKT_Lm4ENS6_16DefaultPtrTraitsEiEENS_6detail16IndexBoundsCheckILm5EiEESD_Lm5ESE_iEENS8_INS9_ISB_SC_Lm4ESE_iEESI_SC_Lm5ESE_iEESJ_iiiiiiiii.private_seg_size, 0
	.set _ZN2at6native12_GLOBAL__N_143conv_depthwise3d_cuda_backward_input_kernelIN3c104HalfEfLi3ELi3ELi3ELin1ELin1ELin1ELi1ELi1ELi1EEEvN5torch10headeronly6detail27GenericPackedTensorAccessorINS7_14TensorAccessorINS3_8ArrayRefIlEEKT_Lm4ENS6_16DefaultPtrTraitsEiEENS_6detail16IndexBoundsCheckILm5EiEESD_Lm5ESE_iEENS8_INS9_ISB_SC_Lm4ESE_iEESI_SC_Lm5ESE_iEESJ_iiiiiiiii.uses_vcc, 1
	.set _ZN2at6native12_GLOBAL__N_143conv_depthwise3d_cuda_backward_input_kernelIN3c104HalfEfLi3ELi3ELi3ELin1ELin1ELin1ELi1ELi1ELi1EEEvN5torch10headeronly6detail27GenericPackedTensorAccessorINS7_14TensorAccessorINS3_8ArrayRefIlEEKT_Lm4ENS6_16DefaultPtrTraitsEiEENS_6detail16IndexBoundsCheckILm5EiEESD_Lm5ESE_iEENS8_INS9_ISB_SC_Lm4ESE_iEESI_SC_Lm5ESE_iEESJ_iiiiiiiii.uses_flat_scratch, 0
	.set _ZN2at6native12_GLOBAL__N_143conv_depthwise3d_cuda_backward_input_kernelIN3c104HalfEfLi3ELi3ELi3ELin1ELin1ELin1ELi1ELi1ELi1EEEvN5torch10headeronly6detail27GenericPackedTensorAccessorINS7_14TensorAccessorINS3_8ArrayRefIlEEKT_Lm4ENS6_16DefaultPtrTraitsEiEENS_6detail16IndexBoundsCheckILm5EiEESD_Lm5ESE_iEENS8_INS9_ISB_SC_Lm4ESE_iEESI_SC_Lm5ESE_iEESJ_iiiiiiiii.has_dyn_sized_stack, 0
	.set _ZN2at6native12_GLOBAL__N_143conv_depthwise3d_cuda_backward_input_kernelIN3c104HalfEfLi3ELi3ELi3ELin1ELin1ELin1ELi1ELi1ELi1EEEvN5torch10headeronly6detail27GenericPackedTensorAccessorINS7_14TensorAccessorINS3_8ArrayRefIlEEKT_Lm4ENS6_16DefaultPtrTraitsEiEENS_6detail16IndexBoundsCheckILm5EiEESD_Lm5ESE_iEENS8_INS9_ISB_SC_Lm4ESE_iEESI_SC_Lm5ESE_iEESJ_iiiiiiiii.has_recursion, 0
	.set _ZN2at6native12_GLOBAL__N_143conv_depthwise3d_cuda_backward_input_kernelIN3c104HalfEfLi3ELi3ELi3ELin1ELin1ELin1ELi1ELi1ELi1EEEvN5torch10headeronly6detail27GenericPackedTensorAccessorINS7_14TensorAccessorINS3_8ArrayRefIlEEKT_Lm4ENS6_16DefaultPtrTraitsEiEENS_6detail16IndexBoundsCheckILm5EiEESD_Lm5ESE_iEENS8_INS9_ISB_SC_Lm4ESE_iEESI_SC_Lm5ESE_iEESJ_iiiiiiiii.has_indirect_call, 0
	.section	.AMDGPU.csdata,"",@progbits
; Kernel info:
; codeLenInByte = 4696
; TotalNumSgprs: 89
; NumVgprs: 126
; ScratchSize: 0
; MemoryBound: 0
; FloatMode: 240
; IeeeMode: 1
; LDSByteSize: 0 bytes/workgroup (compile time only)
; SGPRBlocks: 0
; VGPRBlocks: 7
; NumSGPRsForWavesPerEU: 89
; NumVGPRsForWavesPerEU: 126
; NamedBarCnt: 0
; Occupancy: 8
; WaveLimiterHint : 0
; COMPUTE_PGM_RSRC2:SCRATCH_EN: 0
; COMPUTE_PGM_RSRC2:USER_SGPR: 2
; COMPUTE_PGM_RSRC2:TRAP_HANDLER: 0
; COMPUTE_PGM_RSRC2:TGID_X_EN: 1
; COMPUTE_PGM_RSRC2:TGID_Y_EN: 0
; COMPUTE_PGM_RSRC2:TGID_Z_EN: 0
; COMPUTE_PGM_RSRC2:TIDIG_COMP_CNT: 0
	.section	.text._ZN2at6native12_GLOBAL__N_143conv_depthwise3d_cuda_backward_input_kernelIN3c104HalfEfLi3ELi3ELi3ELin1ELin1ELin1ELin1ELin1ELin1EEEvN5torch10headeronly6detail27GenericPackedTensorAccessorINS7_14TensorAccessorINS3_8ArrayRefIlEEKT_Lm4ENS6_16DefaultPtrTraitsEiEENS_6detail16IndexBoundsCheckILm5EiEESD_Lm5ESE_iEENS8_INS9_ISB_SC_Lm4ESE_iEESI_SC_Lm5ESE_iEESJ_iiiiiiiii,"axG",@progbits,_ZN2at6native12_GLOBAL__N_143conv_depthwise3d_cuda_backward_input_kernelIN3c104HalfEfLi3ELi3ELi3ELin1ELin1ELin1ELin1ELin1ELin1EEEvN5torch10headeronly6detail27GenericPackedTensorAccessorINS7_14TensorAccessorINS3_8ArrayRefIlEEKT_Lm4ENS6_16DefaultPtrTraitsEiEENS_6detail16IndexBoundsCheckILm5EiEESD_Lm5ESE_iEENS8_INS9_ISB_SC_Lm4ESE_iEESI_SC_Lm5ESE_iEESJ_iiiiiiiii,comdat
	.globl	_ZN2at6native12_GLOBAL__N_143conv_depthwise3d_cuda_backward_input_kernelIN3c104HalfEfLi3ELi3ELi3ELin1ELin1ELin1ELin1ELin1ELin1EEEvN5torch10headeronly6detail27GenericPackedTensorAccessorINS7_14TensorAccessorINS3_8ArrayRefIlEEKT_Lm4ENS6_16DefaultPtrTraitsEiEENS_6detail16IndexBoundsCheckILm5EiEESD_Lm5ESE_iEENS8_INS9_ISB_SC_Lm4ESE_iEESI_SC_Lm5ESE_iEESJ_iiiiiiiii ; -- Begin function _ZN2at6native12_GLOBAL__N_143conv_depthwise3d_cuda_backward_input_kernelIN3c104HalfEfLi3ELi3ELi3ELin1ELin1ELin1ELin1ELin1ELin1EEEvN5torch10headeronly6detail27GenericPackedTensorAccessorINS7_14TensorAccessorINS3_8ArrayRefIlEEKT_Lm4ENS6_16DefaultPtrTraitsEiEENS_6detail16IndexBoundsCheckILm5EiEESD_Lm5ESE_iEENS8_INS9_ISB_SC_Lm4ESE_iEESI_SC_Lm5ESE_iEESJ_iiiiiiiii
	.p2align	8
	.type	_ZN2at6native12_GLOBAL__N_143conv_depthwise3d_cuda_backward_input_kernelIN3c104HalfEfLi3ELi3ELi3ELin1ELin1ELin1ELin1ELin1ELin1EEEvN5torch10headeronly6detail27GenericPackedTensorAccessorINS7_14TensorAccessorINS3_8ArrayRefIlEEKT_Lm4ENS6_16DefaultPtrTraitsEiEENS_6detail16IndexBoundsCheckILm5EiEESD_Lm5ESE_iEENS8_INS9_ISB_SC_Lm4ESE_iEESI_SC_Lm5ESE_iEESJ_iiiiiiiii,@function
_ZN2at6native12_GLOBAL__N_143conv_depthwise3d_cuda_backward_input_kernelIN3c104HalfEfLi3ELi3ELi3ELin1ELin1ELin1ELin1ELin1ELin1EEEvN5torch10headeronly6detail27GenericPackedTensorAccessorINS7_14TensorAccessorINS3_8ArrayRefIlEEKT_Lm4ENS6_16DefaultPtrTraitsEiEENS_6detail16IndexBoundsCheckILm5EiEESD_Lm5ESE_iEENS8_INS9_ISB_SC_Lm4ESE_iEESI_SC_Lm5ESE_iEESJ_iiiiiiiii: ; @_ZN2at6native12_GLOBAL__N_143conv_depthwise3d_cuda_backward_input_kernelIN3c104HalfEfLi3ELi3ELi3ELin1ELin1ELin1ELin1ELin1ELin1EEEvN5torch10headeronly6detail27GenericPackedTensorAccessorINS7_14TensorAccessorINS3_8ArrayRefIlEEKT_Lm4ENS6_16DefaultPtrTraitsEiEENS_6detail16IndexBoundsCheckILm5EiEESD_Lm5ESE_iEENS8_INS9_ISB_SC_Lm4ESE_iEESI_SC_Lm5ESE_iEESJ_iiiiiiiii
; %bb.0:
	s_clause 0x2
	s_load_b128 s[44:47], s[0:1], 0x38
	s_load_b32 s2, s[0:1], 0xc4
	s_load_b64 s[30:31], s[0:1], 0x48
	s_bfe_u32 s3, ttmp6, 0x4000c
	s_and_b32 s4, ttmp6, 15
	s_add_co_i32 s3, s3, 1
	s_getreg_b32 s5, hwreg(HW_REG_IB_STS2, 6, 4)
	s_mul_i32 s3, ttmp9, s3
	v_mov_b32_e32 v1, 0
	s_add_co_i32 s4, s4, s3
                                        ; implicit-def: $vgpr126 : SGPR spill to VGPR lane
	s_wait_kmcnt 0x0
	s_abs_i32 s33, s45
	s_and_b32 s2, s2, 0xffff
	s_cmp_eq_u32 s5, 0
	s_cselect_b32 s3, ttmp9, s4
	s_mul_i32 s4, s31, s44
	v_mad_nc_u64_u32 v[2:3], s2, s3, v[0:1]
	s_cvt_f32_u32 s3, s33
	s_ashr_i32 s5, s4, 31
	v_writelane_b32 v126, s4, 0
	s_delay_alu instid0(SALU_CYCLE_1) | instskip(SKIP_1) | instid1(VALU_DEP_3)
	v_rcp_iflag_f32_e32 v0, s3
	v_writelane_b32 v126, s5, 1
	v_cmp_gt_i64_e32 vcc_lo, s[4:5], v[2:3]
	s_delay_alu instid0(TRANS32_DEP_1)
	v_readfirstlane_b32 s3, v0
	s_and_saveexec_b32 s4, vcc_lo
	s_cbranch_execz .LBB25_62
; %bb.1:
	s_clause 0x1
	s_load_b128 s[48:51], s[0:1], 0xc
	s_load_b64 s[14:15], s[0:1], 0x0
	s_mul_f32 s3, s3, 0x4f7ffffe
	s_sub_co_i32 s8, 0, s33
	s_mov_b32 s11, 0
	s_add_nc_u64 s[6:7], s[0:1], 0xb8
	s_cvt_u32_f32 s3, s3
	s_mov_b32 s5, s11
	s_ashr_i32 s9, s45, 31
	s_load_b32 s12, s[0:1], 0xb0
	s_mul_i32 s4, s8, s3
	s_load_b256 s[36:43], s[0:1], 0x90
	s_mul_hi_u32 s4, s3, s4
                                        ; kill: killed $sgpr0_sgpr1
	s_mov_b32 s13, s11
	s_add_co_i32 s4, s3, s4
	s_load_b32 s3, s[6:7], 0x0
	s_mov_b32 s75, s11
	s_mov_b32 s77, s11
	;; [unrolled: 1-line block ×3, first 2 shown]
	s_load_b128 s[52:55], s[0:1], 0x50
	s_wait_kmcnt 0x0
	s_abs_i32 s10, s48
	v_writelane_b32 v126, s14, 2
	s_mul_u64 s[4:5], s[10:11], s[4:5]
	s_ashr_i32 s4, s48, 31
	s_mul_i32 s6, s5, s33
	s_xor_b32 s4, s4, s9
	s_sub_co_i32 s6, s10, s6
	s_load_b32 s10, s[0:1], 0x7c
	v_writelane_b32 v126, s15, 3
	s_clause 0x1
	s_load_b64 s[60:61], s[0:1], 0x1c
	s_load_b64 s[14:15], s[0:1], 0x30
	s_add_co_i32 s7, s5, 1
	v_writelane_b32 v126, s9, 4
	s_sub_co_i32 s9, s6, s33
	s_cmp_ge_u32 s6, s33
	s_cselect_b32 s5, s7, s5
	s_cselect_b32 s6, s9, s6
	s_add_co_i32 s7, s5, 1
	s_cmp_ge_u32 s6, s33
	s_cselect_b32 s5, s7, s5
	s_load_b64 s[6:7], s[0:1], 0x60
	s_wait_xcnt 0x0
	s_xor_b32 s0, s5, s4
	s_delay_alu instid0(SALU_CYCLE_1)
	s_sub_co_i32 s1, s0, s4
	s_wait_kmcnt 0x0
	v_writelane_b32 v126, s10, 5
	s_cmp_gt_i32 s1, 0
	v_readfirstlane_b32 s0, v0
	s_mul_i32 s10, s3, s2
	v_writelane_b32 v126, s14, 6
	s_mul_f32 s0, s0, 0x4f7ffffe
	v_writelane_b32 v126, s15, 7
	s_delay_alu instid0(SALU_CYCLE_2) | instskip(NEXT) | instid1(SALU_CYCLE_3)
	s_cvt_u32_f32 s0, s0
	s_mul_i32 s8, s8, s0
	v_writelane_b32 v126, s6, 8
	v_writelane_b32 v126, s7, 9
	v_writelane_b32 v126, s1, 10
	s_cselect_b32 s1, -1, 0
	s_abs_i32 s85, s30
	s_abs_i32 s86, s47
	s_lshl_b32 s3, s42, 1
	v_writelane_b32 v126, s1, 11
	s_lshl_b32 s1, s12, 1
	s_cvt_f32_u32 s2, s86
	s_abs_i32 s87, s46
	s_sub_co_i32 s4, 0, s86
	v_writelane_b32 v126, s12, 12
	v_rcp_iflag_f32_e32 v4, s2
	s_abs_i32 s91, s36
	s_sub_co_i32 s6, 0, s87
	s_cvt_f32_u32 s7, s91
	v_writelane_b32 v126, s1, 13
	s_lshl_b32 s1, s43, 1
	s_abs_i32 s93, s37
	s_abs_i32 s94, s38
	s_ashr_i32 s96, s37, 31
	v_writelane_b32 v126, s1, 14
	s_cvt_f32_u32 s1, s85
	s_ashr_i32 s97, s38, 31
	s_delay_alu instid0(SALU_CYCLE_2) | instskip(SKIP_4) | instid1(TRANS32_DEP_1)
	v_rcp_iflag_f32_e32 v0, s1
	v_writelane_b32 v126, s3, 15
	s_ashr_i32 s1, s30, 31
	s_cvt_f32_u32 s3, s87
	v_writelane_b32 v126, s1, 16
	v_readfirstlane_b32 s2, v0
	s_ashr_i32 s1, s47, 31
	v_rcp_iflag_f32_e32 v5, s3
	v_nop
	v_readfirstlane_b32 s3, v4
	v_writelane_b32 v126, s1, 17
	s_mul_f32 s2, s2, 0x4f7ffffe
	s_sub_co_i32 s1, 0, s85
	v_rcp_iflag_f32_e32 v0, s7
	s_mul_f32 s3, s3, 0x4f7ffffe
	s_cvt_u32_f32 s2, s2
	v_readfirstlane_b32 s5, v5
	s_mov_b32 s7, s11
	s_cvt_u32_f32 s3, s3
	s_mul_i32 s1, s1, s2
	s_delay_alu instid0(SALU_CYCLE_1) | instskip(NEXT) | instid1(SALU_CYCLE_1)
	s_mul_hi_u32 s1, s2, s1
	s_mul_i32 s4, s4, s3
	s_add_co_i32 s12, s2, s1
	s_mul_hi_u32 s4, s3, s4
	v_writelane_b32 v126, s12, 18
	s_add_co_i32 s2, s3, s4
	s_mov_b32 s3, s11
	s_mul_f32 s5, s5, 0x4f7ffffe
	s_ashr_i32 s1, s46, 31
	v_writelane_b32 v126, s13, 19
	s_delay_alu instid0(SALU_CYCLE_1) | instskip(SKIP_1) | instid1(SALU_CYCLE_2)
	s_cvt_u32_f32 s5, s5
	v_writelane_b32 v126, s2, 20
	s_mul_i32 s6, s6, s5
	v_writelane_b32 v126, s3, 21
	v_readfirstlane_b32 s2, v0
	s_mul_hi_u32 s3, s0, s8
	v_writelane_b32 v126, s1, 22
	s_mul_hi_u32 s1, s5, s6
	s_mul_f32 s2, s2, 0x4f7ffffe
	s_add_co_i32 s4, s5, s1
	s_cvt_f32_u32 s1, s93
	s_mov_b32 s5, s11
	v_writelane_b32 v126, s4, 23
	s_cvt_u32_f32 s2, s2
	v_rcp_iflag_f32_e32 v0, s1
	s_cvt_f32_u32 s1, s94
	s_add_co_i32 s6, s0, s3
	v_writelane_b32 v126, s5, 24
	s_sub_co_i32 s4, 0, s91
	v_rcp_iflag_f32_e32 v4, s1
	s_mul_i32 s4, s4, s2
	v_nop
	v_readfirstlane_b32 s1, v0
	v_writelane_b32 v126, s6, 25
	s_mul_hi_u32 s0, s2, s4
	s_ashr_i32 s4, s36, 31
	s_add_co_i32 s74, s2, s0
	v_readfirstlane_b32 s3, v4
	s_mul_f32 s1, s1, 0x4f7ffffe
	v_writelane_b32 v126, s7, 26
	s_sub_co_i32 s2, 0, s93
	s_delay_alu instid0(SALU_CYCLE_1)
	s_cvt_u32_f32 s0, s1
	s_mul_f32 s1, s3, 0x4f7ffffe
	v_writelane_b32 v126, s4, 27
	s_sub_co_i32 s3, 0, s94
	s_mul_i32 s2, s2, s0
	s_cvt_u32_f32 s1, s1
	s_mul_hi_u32 s2, s0, s2
	v_writelane_b32 v126, s10, 28
	s_add_co_i32 s76, s0, s2
	s_mul_i32 s3, s3, s1
	s_mov_b32 s98, s11
	s_mul_hi_u32 s0, s1, s3
	v_writelane_b32 v126, s11, 29
	s_add_co_i32 s78, s1, s0
	s_branch .LBB25_4
.LBB25_2:                               ;   in Loop: Header=BB25_4 Depth=1
	s_or_b32 exec_lo, exec_lo, s99
	s_delay_alu instid0(VALU_DEP_1)
	v_cvt_f16_f32_e32 v0, v72
.LBB25_3:                               ;   in Loop: Header=BB25_4 Depth=1
	v_mul_lo_u32 v4, v69, s31
	v_mul_lo_u32 v6, s52, v70
	;; [unrolled: 1-line block ×3, first 2 shown]
	v_readlane_b32 s0, v126, 6
	v_readlane_b32 s1, v126, 7
	v_mul_lo_u32 v10, s54, v67
	v_mul_lo_u32 v12, s55, v66
	v_dual_ashrrev_i32 v5, 31, v4 :: v_dual_ashrrev_i32 v7, 31, v6
	s_delay_alu instid0(VALU_DEP_3) | instskip(NEXT) | instid1(VALU_DEP_2)
	v_dual_ashrrev_i32 v9, 31, v8 :: v_dual_ashrrev_i32 v11, 31, v10
	v_lshl_add_u64 v[4:5], v[4:5], 1, s[0:1]
	v_readlane_b32 s0, v126, 28
	v_readlane_b32 s1, v126, 29
	v_ashrrev_i32_e32 v13, 31, v12
	s_delay_alu instid0(VALU_DEP_4) | instskip(NEXT) | instid1(VALU_DEP_3)
	v_lshl_add_u64 v[4:5], v[6:7], 1, v[4:5]
	v_add_nc_u64_e32 v[2:3], s[0:1], v[2:3]
	v_readlane_b32 s0, v126, 0
	v_readlane_b32 s1, v126, 1
	s_delay_alu instid0(VALU_DEP_4) | instskip(NEXT) | instid1(VALU_DEP_2)
	v_lshl_add_u64 v[4:5], v[8:9], 1, v[4:5]
	v_cmp_le_i64_e32 vcc_lo, s[0:1], v[2:3]
	s_delay_alu instid0(VALU_DEP_2) | instskip(NEXT) | instid1(VALU_DEP_1)
	v_lshl_add_u64 v[4:5], v[10:11], 1, v[4:5]
	v_lshl_add_u64 v[4:5], v[12:13], 1, v[4:5]
	s_or_b32 s98, vcc_lo, s98
	global_store_b16 v[4:5], v0, off
	s_wait_xcnt 0x0
	s_and_not1_b32 exec_lo, exec_lo, s98
	s_cbranch_execz .LBB25_62
.LBB25_4:                               ; =>This Loop Header: Depth=1
                                        ;     Child Loop BB25_7 Depth 2
	v_sub_nc_u32_e32 v0, 0, v2
	s_delay_alu instid0(VALU_DEP_2) | instskip(SKIP_1) | instid1(VALU_DEP_3)
	v_readlane_b32 s0, v126, 18
	v_readlane_b32 s1, v126, 19
	v_max_i32_e32 v0, v2, v0
	s_delay_alu instid0(VALU_DEP_1) | instskip(SKIP_1) | instid1(VALU_DEP_2)
	v_mul_u64_e32 v[4:5], s[0:1], v[0:1]
	v_readlane_b32 s0, v126, 16
	v_mul_lo_u32 v4, v5, s85
	s_delay_alu instid0(VALU_DEP_1) | instskip(NEXT) | instid1(VALU_DEP_1)
	v_dual_sub_nc_u32 v0, v0, v4 :: v_dual_add_nc_u32 v4, 1, v5
	v_cmp_le_u32_e32 vcc_lo, s85, v0
	s_delay_alu instid0(VALU_DEP_2) | instskip(SKIP_2) | instid1(VALU_DEP_2)
	v_cndmask_b32_e32 v4, v5, v4, vcc_lo
	v_subrev_nc_u32_e32 v6, s85, v0
	v_ashrrev_i32_e32 v5, 31, v2
	v_dual_cndmask_b32 v0, v0, v6, vcc_lo :: v_dual_add_nc_u32 v6, 1, v4
	s_delay_alu instid0(VALU_DEP_1) | instskip(NEXT) | instid1(VALU_DEP_3)
	v_cmp_le_u32_e32 vcc_lo, s85, v0
	v_xor_b32_e32 v5, s0, v5
	v_readlane_b32 s0, v126, 20
	v_readlane_b32 s1, v126, 21
	v_cndmask_b32_e32 v0, v4, v6, vcc_lo
	s_delay_alu instid0(VALU_DEP_1) | instskip(NEXT) | instid1(VALU_DEP_1)
	v_xor_b32_e32 v0, v0, v5
	v_sub_nc_u32_e32 v6, v0, v5
	s_delay_alu instid0(VALU_DEP_1) | instskip(NEXT) | instid1(VALU_DEP_1)
	v_sub_nc_u32_e32 v0, 0, v6
	v_max_i32_e32 v0, v6, v0
	s_delay_alu instid0(VALU_DEP_1) | instskip(SKIP_1) | instid1(VALU_DEP_2)
	v_mul_u64_e32 v[4:5], s[0:1], v[0:1]
	v_readlane_b32 s0, v126, 17
	v_mul_lo_u32 v4, v5, s86
	s_delay_alu instid0(VALU_DEP_1) | instskip(NEXT) | instid1(VALU_DEP_1)
	v_dual_sub_nc_u32 v0, v0, v4 :: v_dual_add_nc_u32 v4, 1, v5
	v_subrev_nc_u32_e32 v7, s86, v0
	v_cmp_le_u32_e32 vcc_lo, s86, v0
	s_delay_alu instid0(VALU_DEP_2) | instskip(NEXT) | instid1(VALU_DEP_1)
	v_dual_cndmask_b32 v4, v5, v4, vcc_lo :: v_dual_cndmask_b32 v0, v0, v7, vcc_lo
	v_dual_ashrrev_i32 v5, 31, v6 :: v_dual_add_nc_u32 v7, 1, v4
	s_delay_alu instid0(VALU_DEP_2) | instskip(NEXT) | instid1(VALU_DEP_2)
	v_cmp_le_u32_e32 vcc_lo, s86, v0
	v_xor_b32_e32 v5, s0, v5
	v_readlane_b32 s0, v126, 23
	v_readlane_b32 s1, v126, 24
	v_cndmask_b32_e32 v0, v4, v7, vcc_lo
	s_delay_alu instid0(VALU_DEP_1) | instskip(NEXT) | instid1(VALU_DEP_1)
	v_xor_b32_e32 v0, v0, v5
	v_sub_nc_u32_e32 v7, v0, v5
	s_delay_alu instid0(VALU_DEP_1) | instskip(NEXT) | instid1(VALU_DEP_1)
	v_sub_nc_u32_e32 v0, 0, v7
	v_max_i32_e32 v0, v7, v0
	s_delay_alu instid0(VALU_DEP_1) | instskip(SKIP_1) | instid1(VALU_DEP_2)
	v_mul_u64_e32 v[4:5], s[0:1], v[0:1]
	v_readlane_b32 s0, v126, 22
	v_mul_lo_u32 v4, v5, s87
	s_delay_alu instid0(VALU_DEP_1) | instskip(NEXT) | instid1(VALU_DEP_1)
	v_dual_sub_nc_u32 v0, v0, v4 :: v_dual_add_nc_u32 v4, 1, v5
	v_subrev_nc_u32_e32 v8, s87, v0
	v_cmp_le_u32_e32 vcc_lo, s87, v0
	s_delay_alu instid0(VALU_DEP_3) | instskip(NEXT) | instid1(VALU_DEP_1)
	v_dual_cndmask_b32 v4, v5, v4 :: v_dual_ashrrev_i32 v5, 31, v7
	v_dual_cndmask_b32 v0, v0, v8, vcc_lo :: v_dual_bitop2_b32 v5, s0, v5 bitop3:0x14
	s_delay_alu instid0(VALU_DEP_2) | instskip(NEXT) | instid1(VALU_DEP_2)
	v_add_nc_u32_e32 v8, 1, v4
	v_cmp_le_u32_e32 vcc_lo, s87, v0
	v_readlane_b32 s0, v126, 25
	v_readlane_b32 s1, v126, 26
	s_delay_alu instid0(VALU_DEP_4) | instskip(NEXT) | instid1(VALU_DEP_1)
	v_cndmask_b32_e32 v0, v4, v8, vcc_lo
	v_xor_b32_e32 v0, v0, v5
	s_delay_alu instid0(VALU_DEP_1) | instskip(NEXT) | instid1(VALU_DEP_1)
	v_sub_nc_u32_e32 v8, v0, v5
	v_sub_nc_u32_e32 v0, 0, v8
	s_delay_alu instid0(VALU_DEP_1) | instskip(NEXT) | instid1(VALU_DEP_1)
	v_max_i32_e32 v0, v8, v0
	v_mul_u64_e32 v[4:5], s[0:1], v[0:1]
	v_readlane_b32 s0, v126, 4
	s_delay_alu instid0(VALU_DEP_2) | instskip(NEXT) | instid1(VALU_DEP_1)
	v_mul_lo_u32 v4, v5, s33
	v_dual_sub_nc_u32 v0, v0, v4 :: v_dual_add_nc_u32 v4, 1, v5
	s_delay_alu instid0(VALU_DEP_1) | instskip(SKIP_1) | instid1(VALU_DEP_2)
	v_subrev_nc_u32_e32 v9, s33, v0
	v_cmp_le_u32_e32 vcc_lo, s33, v0
	v_dual_cndmask_b32 v4, v5, v4, vcc_lo :: v_dual_cndmask_b32 v0, v0, v9, vcc_lo
	v_ashrrev_i32_e32 v5, 31, v8
	s_delay_alu instid0(VALU_DEP_2) | instskip(NEXT) | instid1(VALU_DEP_3)
	v_add_nc_u32_e32 v9, 1, v4
	v_cmp_le_u32_e32 vcc_lo, s33, v0
	s_delay_alu instid0(VALU_DEP_3) | instskip(SKIP_1) | instid1(VALU_DEP_4)
	v_xor_b32_e32 v5, s0, v5
	v_readlane_b32 s0, v126, 11
	v_cndmask_b32_e32 v0, v4, v9, vcc_lo
	v_mul_lo_u32 v4, v7, s47
	s_and_not1_b32 vcc_lo, exec_lo, s0
	s_delay_alu instid0(VALU_DEP_1) | instskip(NEXT) | instid1(VALU_DEP_1)
	v_dual_sub_nc_u32 v67, v6, v4 :: v_dual_bitop2_b32 v0, v0, v5 bitop3:0x14
	v_sub_nc_u32_e32 v69, v0, v5
	v_mul_lo_u32 v0, v6, s30
	v_mul_lo_u32 v5, v8, s46
	s_delay_alu instid0(VALU_DEP_2) | instskip(NEXT) | instid1(VALU_DEP_4)
	v_sub_nc_u32_e32 v66, v2, v0
	v_mul_lo_u32 v9, v69, s45
	s_delay_alu instid0(VALU_DEP_3) | instskip(NEXT) | instid1(VALU_DEP_2)
	v_sub_nc_u32_e32 v68, v7, v5
	v_sub_nc_u32_e32 v70, v8, v9
	s_cbranch_vccnz .LBB25_61
; %bb.5:                                ;   in Loop: Header=BB25_4 Depth=1
	s_delay_alu instid0(VALU_DEP_2) | instskip(SKIP_3) | instid1(VALU_DEP_4)
	v_dual_add_nc_u32 v15, s39, v68 :: v_dual_add_nc_u32 v16, s40, v67
	v_readlane_b32 s0, v126, 14
	v_mov_b32_e32 v72, 0
	v_readlane_b32 s2, v126, 27
	v_dual_sub_nc_u32 v0, 0, v15 :: v_dual_sub_nc_u32 v5, 0, v16
	s_delay_alu instid0(VALU_DEP_4) | instskip(SKIP_1) | instid1(VALU_DEP_3)
	v_subrev_nc_u32_e32 v14, s0, v16
	v_subrev_nc_u32_e32 v24, s43, v16
	v_dual_ashrrev_i32 v7, 31, v15 :: v_dual_max_i32 v0, v15, v0
	v_add_nc_u32_e32 v17, s41, v66
	v_readlane_b32 s1, v126, 10
	s_delay_alu instid0(VALU_DEP_3) | instskip(NEXT) | instid1(VALU_DEP_4)
	v_dual_sub_nc_u32 v25, 0, v24 :: v_dual_bitop2_b32 v33, s2, v7 bitop3:0x14
	v_mul_u64_e32 v[12:13], s[74:75], v[0:1]
	v_mul_lo_u32 v6, s60, v69
	s_mul_i32 s0, s61, s1
	v_mul_lo_u32 v71, v70, s1
	v_subrev_nc_u32_e32 v22, s42, v15
	s_mov_b32 s99, 0
	v_dual_ashrrev_i32 v12, 31, v17 :: v_dual_ashrrev_i32 v27, 31, v14
	s_delay_alu instid0(VALU_DEP_2) | instskip(NEXT) | instid1(VALU_DEP_2)
	v_dual_ashrrev_i32 v34, 31, v24 :: v_dual_ashrrev_i32 v36, 31, v22
	v_dual_sub_nc_u32 v26, 0, v22 :: v_dual_bitop2_b32 v28, s97, v12 bitop3:0x14
	v_add_nc_u32_e32 v73, s1, v71
	v_mul_lo_u32 v4, v13, s91
	s_delay_alu instid0(VALU_DEP_1) | instskip(SKIP_2) | instid1(VALU_DEP_3)
	v_sub_nc_u32_e32 v19, v0, v4
	v_max_i32_e32 v0, v16, v5
	v_sub_nc_u32_e32 v5, 0, v17
	v_cmp_le_u32_e32 vcc_lo, s91, v19
	s_delay_alu instid0(VALU_DEP_3) | instskip(SKIP_1) | instid1(VALU_DEP_1)
	v_mul_u64_e32 v[10:11], s[76:77], v[0:1]
	v_ashrrev_i32_e32 v10, 31, v16
	v_xor_b32_e32 v30, s96, v10
	s_delay_alu instid0(VALU_DEP_3) | instskip(NEXT) | instid1(VALU_DEP_1)
	v_mul_lo_u32 v4, v11, s93
	v_dual_sub_nc_u32 v18, v0, v4 :: v_dual_max_i32 v0, v17, v5
	v_sub_nc_u32_e32 v5, 0, v14
	s_delay_alu instid0(VALU_DEP_2) | instskip(NEXT) | instid1(VALU_DEP_1)
	v_mul_u64_e32 v[8:9], s[78:79], v[0:1]
	v_mul_lo_u32 v4, v9, s94
	s_delay_alu instid0(VALU_DEP_1) | instskip(NEXT) | instid1(VALU_DEP_1)
	v_dual_sub_nc_u32 v8, v0, v4 :: v_dual_max_i32 v0, v14, v5
	v_mul_u64_e32 v[4:5], s[76:77], v[0:1]
	v_mul_lo_u32 v4, s0, v70
	v_readlane_b32 s0, v126, 15
	s_delay_alu instid0(VALU_DEP_1) | instskip(SKIP_1) | instid1(VALU_DEP_2)
	v_subrev_nc_u32_e32 v20, s0, v15
	v_readlane_b32 s0, v126, 12
	v_dual_ashrrev_i32 v35, 31, v20 :: v_dual_sub_nc_u32 v31, 0, v20
	s_delay_alu instid0(VALU_DEP_2) | instskip(SKIP_1) | instid1(VALU_DEP_2)
	v_subrev_nc_u32_e32 v46, s0, v17
	v_readlane_b32 s0, v126, 13
	v_dual_ashrrev_i32 v37, 31, v46 :: v_dual_sub_nc_u32 v21, 0, v46
	s_delay_alu instid0(VALU_DEP_2) | instskip(SKIP_1) | instid1(VALU_DEP_2)
	v_subrev_nc_u32_e32 v64, s0, v17
	v_readlane_b32 s0, v126, 5
	v_dual_ashrrev_i32 v38, 31, v64 :: v_dual_sub_nc_u32 v23, 0, v64
	s_delay_alu instid0(VALU_DEP_2) | instskip(SKIP_3) | instid1(VALU_DEP_1)
	v_mul_lo_u32 v10, s0, v71
	v_readlane_b32 s0, v126, 2
	v_readlane_b32 s1, v126, 3
	v_mul_lo_u32 v7, v5, s93
	v_dual_add_nc_u32 v12, 1, v13 :: v_dual_sub_nc_u32 v32, v0, v7
	v_dual_ashrrev_i32 v7, 31, v6 :: v_dual_max_i32 v0, v24, v25
	v_subrev_nc_u32_e32 v25, s91, v19
	s_delay_alu instid0(VALU_DEP_3) | instskip(NEXT) | instid1(VALU_DEP_3)
	v_dual_cndmask_b32 v39, v13, v12, vcc_lo :: v_dual_bitop2_b32 v29, s96, v27 bitop3:0x14
	v_mul_u64_e32 v[12:13], s[76:77], v[0:1]
	s_delay_alu instid0(VALU_DEP_3) | instskip(NEXT) | instid1(VALU_DEP_3)
	v_dual_cndmask_b32 v25, v19, v25, vcc_lo :: v_dual_bitop2_b32 v12, s96, v34 bitop3:0x14
	v_dual_add_nc_u32 v34, 1, v39 :: v_dual_bitop2_b32 v19, s2, v36 bitop3:0x14
	v_subrev_nc_u32_e32 v36, s93, v18
	v_lshl_add_u64 v[6:7], v[6:7], 1, s[0:1]
	s_delay_alu instid0(VALU_DEP_4)
	v_cmp_le_u32_e32 vcc_lo, s91, v25
	v_xor_b32_e32 v27, s2, v35
	v_add_nc_u32_e32 v35, 1, v11
	v_readlane_b32 s0, v126, 8
	v_dual_cndmask_b32 v34, v39, v34, vcc_lo :: v_dual_bitop2_b32 v25, s97, v37 bitop3:0x14
	v_cmp_le_u32_e32 vcc_lo, s93, v18
	v_xor_b32_e32 v48, s97, v38
	v_subrev_nc_u32_e32 v37, s94, v8
	v_readlane_b32 s1, v126, 9
	v_dual_cndmask_b32 v35, v11, v35 :: v_dual_cndmask_b32 v18, v18, v36
	s_delay_alu instid0(VALU_DEP_1) | instskip(NEXT) | instid1(VALU_DEP_2)
	v_dual_add_nc_u32 v36, 1, v35 :: v_dual_bitop2_b32 v34, v34, v33 bitop3:0x14
	v_cmp_le_u32_e32 vcc_lo, s93, v18
	s_delay_alu instid0(VALU_DEP_2) | instskip(NEXT) | instid1(VALU_DEP_3)
	v_dual_ashrrev_i32 v11, 31, v10 :: v_dual_sub_nc_u32 v47, v34, v33
	v_dual_add_nc_u32 v33, 1, v9 :: v_dual_cndmask_b32 v35, v35, v36, vcc_lo
	v_cmp_le_u32_e32 vcc_lo, s94, v8
	s_delay_alu instid0(VALU_DEP_3) | instskip(SKIP_1) | instid1(VALU_DEP_4)
	v_mul_lo_u32 v18, v47, s50
	v_cmp_gt_i32_e64 s17, s49, v47
	v_dual_cndmask_b32 v34, v9, v33, vcc_lo :: v_dual_bitop2_b32 v36, v35, v30 bitop3:0x14
	v_mul_lo_u32 v33, v47, s36
	v_mul_lo_u32 v35, v13, s93
	v_cndmask_b32_e32 v37, v8, v37, vcc_lo
	v_lshl_add_u64 v[8:9], v[10:11], 1, s[0:1]
	v_add_nc_u32_e32 v38, 1, v34
	s_delay_alu instid0(VALU_DEP_3) | instskip(SKIP_1) | instid1(VALU_DEP_3)
	v_cmp_le_u32_e32 vcc_lo, s94, v37
	v_cmp_eq_u32_e64 s1, v33, v15
	v_dual_cndmask_b32 v10, v34, v38 :: v_dual_sub_nc_u32 v33, v0, v35
	v_sub_nc_u32_e32 v49, v36, v30
	v_max_i32_e32 v0, v20, v31
	v_cmp_le_u32_e32 vcc_lo, s93, v32
	s_delay_alu instid0(VALU_DEP_4)
	v_xor_b32_e32 v10, v10, v28
	v_cmp_le_u32_e64 s0, s93, v33
	v_add_nc_u32_e32 v15, v49, v18
	v_mul_u64_e32 v[30:31], s[74:75], v[0:1]
	v_mul_lo_u32 v11, v49, s37
	v_sub_nc_u32_e32 v28, v10, v28
	v_subrev_nc_u32_e32 v10, s93, v32
	v_mul_lo_u32 v50, v15, s51
	v_add_nc_u32_e32 v15, 1, v5
	v_cmp_gt_i32_e64 s18, s50, v49
	v_or_b32_e32 v30, v28, v49
	v_cmp_gt_i32_e64 s2, s51, v28
	s_delay_alu instid0(VALU_DEP_4) | instskip(SKIP_2) | instid1(VALU_DEP_3)
	v_dual_cndmask_b32 v5, v5, v15 :: v_dual_cndmask_b32 v10, v32, v10
	v_cmp_eq_u32_e64 s5, v11, v16
	v_mul_lo_u32 v11, v28, s38
	v_dual_add_nc_u32 v15, 1, v5 :: v_dual_bitop2_b32 v16, v30, v47 bitop3:0x54
	s_delay_alu instid0(VALU_DEP_4)
	v_cmp_le_u32_e32 vcc_lo, s93, v10
	v_add_nc_u32_e32 v10, v28, v50
	s_and_b32 s12, s2, s18
	s_and_b32 s82, s1, s5
	v_cndmask_b32_e32 v5, v5, v15, vcc_lo
	v_cmp_lt_i32_e32 vcc_lo, -1, v16
	v_subrev_nc_u32_e32 v16, s93, v33
	v_cmp_eq_u32_e64 s7, v11, v17
	v_dual_ashrrev_i32 v11, 31, v10 :: v_dual_add_nc_u32 v15, 1, v13
	s_and_b32 s3, s12, vcc_lo
	v_cndmask_b32_e64 v16, v33, v16, s0
	s_and_b32 s100, s3, s17
	s_and_b32 vcc_lo, s82, s7
	v_mul_lo_u32 v32, v31, s91
	v_xor_b32_e32 v5, v5, v29
	s_delay_alu instid0(VALU_DEP_1) | instskip(SKIP_2) | instid1(VALU_DEP_3)
	v_sub_nc_u32_e32 v5, v5, v29
	v_cndmask_b32_e64 v13, v13, v15, s0
	v_cmp_le_u32_e64 s0, s93, v16
	v_mul_lo_u32 v15, v5, s37
	s_delay_alu instid0(VALU_DEP_1) | instskip(SKIP_4) | instid1(VALU_DEP_4)
	v_cmp_eq_u32_e64 s6, v15, v14
	v_dual_sub_nc_u32 v14, v0, v32 :: v_dual_max_i32 v0, v22, v26
	v_or_b32_e32 v29, v28, v5
	v_dual_add_nc_u32 v17, 1, v13 :: v_dual_add_nc_u32 v33, v5, v18
	v_cmp_gt_i32_e64 s19, s50, v5
	v_subrev_nc_u32_e32 v15, s91, v14
	s_and_b32 s89, s1, s6
	v_mul_lo_u32 v51, v33, s51
	v_cndmask_b32_e64 v13, v13, v17, s0
	v_mul_u64_e32 v[16:17], s[74:75], v[0:1]
	s_and_b32 s13, s2, s19
	s_delay_alu instid0(VALU_DEP_2) | instskip(NEXT) | instid1(VALU_DEP_1)
	v_xor_b32_e32 v13, v13, v12
	v_dual_sub_nc_u32 v52, v13, v12 :: v_dual_add_nc_u32 v13, 1, v31
	v_or_b32_e32 v34, v29, v47
	v_add_nc_u32_e32 v12, v28, v51
	s_delay_alu instid0(VALU_DEP_3) | instskip(SKIP_1) | instid1(VALU_DEP_4)
	v_add_nc_u32_e32 v18, v52, v18
	v_mul_lo_u32 v16, v52, s37
	v_cmp_lt_i32_e64 s0, -1, v34
	v_cmp_gt_i32_e64 s20, s50, v52
	s_delay_alu instid0(VALU_DEP_4)
	v_mul_lo_u32 v53, v18, s51
	s_and_b32 s3, s13, s0
	v_cmp_le_u32_e64 s0, s91, v14
	s_and_b32 s101, s3, s17
	s_and_b32 s14, s2, s20
	v_cmp_eq_u32_e64 s8, v16, v24
	v_dual_cndmask_b32 v13, v31, v13, s0 :: v_dual_bitop2_b32 v31, v28, v52 bitop3:0x54
	v_cndmask_b32_e64 v14, v14, v15, s0
	s_and_b32 s66, s1, s8
	s_delay_alu instid0(VALU_DEP_2) | instskip(NEXT) | instid1(VALU_DEP_2)
	v_dual_add_nc_u32 v15, 1, v13 :: v_dual_bitop2_b32 v26, v31, v47 bitop3:0x54
	v_cmp_le_u32_e64 s0, s91, v14
	v_add_nc_u32_e32 v14, v28, v53
	s_and_b32 s1, s66, s7
	v_cmp_lt_i32_e64 s3, -1, v26
	v_cndmask_b32_e64 v13, v13, v15, s0
	v_mul_lo_u32 v26, v17, s91
	s_and_b32 s0, s89, s7
	s_and_b32 s2, s14, s3
	s_delay_alu instid0(VALU_DEP_2) | instskip(SKIP_1) | instid1(VALU_DEP_1)
	v_dual_ashrrev_i32 v13, 31, v12 :: v_dual_bitop2_b32 v15, v13, v27 bitop3:0x14
	s_and_b32 s102, s2, s17
	v_dual_sub_nc_u32 v54, v15, v27 :: v_dual_ashrrev_i32 v15, 31, v14
	s_delay_alu instid0(VALU_DEP_1)
	v_mul_lo_u32 v27, v54, s36
	v_or_b32_e32 v18, v31, v54
	v_mul_lo_u32 v32, v54, s50
	v_or_b32_e32 v16, v30, v54
	v_or_b32_e32 v24, v29, v54
	v_cmp_gt_i32_e64 s27, s49, v54
	s_delay_alu instid0(VALU_DEP_3)
	v_cmp_lt_i32_e64 s2, -1, v16
	v_add_nc_u32_e32 v16, 1, v17
	v_cmp_lt_i32_e64 s3, -1, v18
	v_dual_sub_nc_u32 v18, v0, v26 :: v_dual_max_i32 v0, v46, v21
	s_and_b32 s9, s12, s2
	v_cmp_eq_u32_e64 s2, v27, v20
	s_and_b32 s10, s14, s3
	v_add_nc_u32_e32 v21, v52, v32
	v_mul_u64_e32 v[26:27], s[78:79], v[0:1]
	v_subrev_nc_u32_e32 v26, s91, v18
	v_cmp_le_u32_e64 s3, s91, v18
	v_cmp_lt_i32_e64 s4, -1, v24
	v_add_nc_u32_e32 v24, v5, v32
	v_mul_lo_u32 v55, v21, s51
	v_add_nc_u32_e32 v20, v49, v32
	v_dual_cndmask_b32 v16, v17, v16, s3 :: v_dual_cndmask_b32 v17, v18, v26, s3
	s_delay_alu instid0(VALU_DEP_4) | instskip(SKIP_1) | instid1(VALU_DEP_3)
	v_mul_lo_u32 v57, v24, s51
	s_and_b32 s103, s9, s27
	v_mul_lo_u32 v58, v20, s51
	s_delay_alu instid0(VALU_DEP_3)
	v_add_nc_u32_e32 v18, 1, v16
	v_cmp_le_u32_e64 s3, s91, v17
	s_and_b32 s104, s10, s27
	s_and_b32 s67, s2, s5
	;; [unrolled: 1-line block ×4, first 2 shown]
	v_cndmask_b32_e64 v16, v16, v18, s3
	v_dual_add_nc_u32 v18, v28, v55 :: v_dual_add_nc_u32 v20, v28, v57
	s_and_b32 s92, s2, s6
	s_and_b32 vcc_hi, s4, s27
	s_delay_alu instid0(VALU_DEP_2) | instskip(NEXT) | instid1(VALU_DEP_2)
	v_xor_b32_e32 v17, v16, v19
	v_dual_add_nc_u32 v16, v28, v58 :: v_dual_ashrrev_i32 v21, 31, v20
	s_and_b32 s2, s67, s7
	s_and_b32 s3, s90, s7
	s_delay_alu instid0(VALU_DEP_1) | instskip(SKIP_3) | instid1(VALU_DEP_3)
	v_dual_sub_nc_u32 v56, v17, v19 :: v_dual_ashrrev_i32 v17, 31, v16
	v_ashrrev_i32_e32 v19, 31, v18
	s_and_b32 s4, s92, s7
	v_mul_lo_u32 v32, v27, s94
	v_mul_lo_u32 v24, v56, s36
	v_or_b32_e32 v26, v30, v56
	v_or_b32_e32 v30, v31, v56
	v_mul_lo_u32 v31, v56, s50
	v_cmp_gt_i32_e64 s28, s49, v56
	s_delay_alu instid0(VALU_DEP_4)
	v_cmp_lt_i32_e64 s9, -1, v26
	v_dual_add_nc_u32 v26, 1, v27 :: v_dual_sub_nc_u32 v0, v0, v32
	s_and_b32 s12, s12, s9
	v_cmp_eq_u32_e64 s9, v24, v22
	s_and_b32 s58, s12, s28
	v_add_nc_u32_e32 v24, v52, v31
	v_cmp_lt_i32_e64 s10, -1, v30
	v_add_nc_u32_e32 v22, v49, v31
	s_and_b32 s68, s9, s5
	s_and_b32 s69, s9, s8
	v_mul_lo_u32 v62, v24, s51
	s_and_b32 s10, s14, s10
	v_mul_lo_u32 v59, v22, s51
	s_and_b32 s59, s10, s28
	v_cmp_le_u32_e64 s10, s94, v0
	v_or_b32_e32 v29, v29, v56
	s_and_b32 s70, s9, s6
	s_and_b32 s6, s69, s7
	v_cndmask_b32_e64 v26, v27, v26, s10
	s_delay_alu instid0(VALU_DEP_2) | instskip(SKIP_2) | instid1(VALU_DEP_4)
	v_cmp_lt_i32_e64 s11, -1, v29
	v_add_nc_u32_e32 v29, v5, v31
	v_subrev_nc_u32_e32 v30, s94, v0
	v_add_nc_u32_e32 v27, 1, v26
	s_and_b32 s11, s13, s11
	s_delay_alu instid0(VALU_DEP_3) | instskip(NEXT) | instid1(VALU_DEP_3)
	v_mul_lo_u32 v63, v29, s51
	v_cndmask_b32_e64 v0, v0, v30, s10
	v_add_nc_u32_e32 v24, v28, v62
	s_and_b32 s48, s11, s28
	s_delay_alu instid0(VALU_DEP_2) | instskip(SKIP_1) | instid1(VALU_DEP_2)
	v_cmp_le_u32_e64 s5, s94, v0
	v_max_i32_e32 v0, v64, v23
	v_cndmask_b32_e64 v22, v26, v27, s5
	s_delay_alu instid0(VALU_DEP_2) | instskip(SKIP_4) | instid1(VALU_DEP_1)
	v_mul_u64_e32 v[60:61], s[78:79], v[0:1]
	v_add_nc_u32_e32 v26, v28, v63
	s_and_b32 s5, s68, s7
	s_and_b32 s7, s70, s7
	v_dual_add_nc_u32 v22, v28, v59 :: v_dual_bitop2_b32 v23, v22, v25 bitop3:0x14
	v_dual_ashrrev_i32 v27, 31, v26 :: v_dual_sub_nc_u32 v29, v23, v25
	s_delay_alu instid0(VALU_DEP_2) | instskip(NEXT) | instid1(VALU_DEP_2)
	v_dual_ashrrev_i32 v23, 31, v22 :: v_dual_ashrrev_i32 v25, 31, v24
	v_dual_add_nc_u32 v28, v29, v50 :: v_dual_bitop2_b32 v31, v29, v5 bitop3:0x54
	v_dual_add_nc_u32 v30, v29, v53 :: v_dual_bitop2_b32 v33, v29, v52 bitop3:0x54
	;; [unrolled: 1-line block ×3, first 2 shown]
	s_delay_alu instid0(VALU_DEP_3) | instskip(NEXT) | instid1(VALU_DEP_3)
	v_dual_add_nc_u32 v44, v29, v57 :: v_dual_bitop2_b32 v40, v31, v47 bitop3:0x54
	v_or_b32_e32 v42, v33, v56
	s_delay_alu instid0(VALU_DEP_3) | instskip(SKIP_1) | instid1(VALU_DEP_4)
	v_or_b32_e32 v37, v35, v47
	v_mul_lo_u32 v60, v29, s38
	v_cmp_lt_i32_e64 s11, -1, v40
	v_add_nc_u32_e32 v40, v29, v58
	v_or_b32_e32 v74, v31, v54
	v_cmp_lt_i32_e64 s9, -1, v37
	v_dual_ashrrev_i32 v31, 31, v30 :: v_dual_bitop2_b32 v37, v31, v56 bitop3:0x54
	v_cmp_lt_i32_e64 s13, -1, v42
	v_mul_lo_u32 v75, v61, s94
	v_add_nc_u32_e32 v42, v29, v55
	v_cmp_gt_i32_e64 s8, s51, v29
	v_dual_add_nc_u32 v34, v29, v59 :: v_dual_add_nc_u32 v36, v29, v62
	v_dual_add_nc_u32 v38, v29, v63 :: v_dual_bitop2_b32 v41, v35, v56 bitop3:0x54
	v_dual_ashrrev_i32 v29, 31, v28 :: v_dual_bitop2_b32 v39, v33, v47 bitop3:0x54
	v_or_b32_e32 v65, v33, v54
	v_dual_ashrrev_i32 v43, 31, v42 :: v_dual_sub_nc_u32 v0, v0, v75
	s_and_b32 s24, s8, s19
	s_delay_alu instid0(VALU_DEP_3)
	v_cmp_lt_i32_e64 s10, -1, v39
	v_cmp_lt_i32_e64 s14, -1, v37
	v_dual_ashrrev_i32 v37, 31, v36 :: v_dual_ashrrev_i32 v39, 31, v38
	v_cmp_lt_i32_e64 s15, -1, v65
	v_add_nc_u32_e32 v65, 1, v61
	v_cmp_eq_u32_e64 s21, v60, v46
	s_and_b32 s29, s24, s11
	v_subrev_nc_u32_e32 v46, s94, v0
	v_cmp_le_u32_e64 s11, s94, v0
	s_and_b32 s63, s24, s14
	v_dual_ashrrev_i32 v33, 31, v32 :: v_dual_bitop2_b32 v45, v35, v54 bitop3:0x54
	v_cmp_lt_i32_e64 s12, -1, v41
	v_dual_cndmask_b32 v60, v61, v65, s11 :: v_dual_cndmask_b32 v0, v0, v46, s11
	v_ashrrev_i32_e32 v41, 31, v40
	v_cmp_lt_i32_e64 s16, -1, v74
	s_and_b32 s22, s8, s18
	v_add_nc_u32_e32 v46, 1, v60
	v_cmp_le_u32_e64 s14, s94, v0
	s_and_b32 s23, s8, s20
	v_cmp_lt_i32_e64 s8, -1, v45
	s_and_b32 s25, s22, s9
	s_and_b32 s26, s23, s10
	v_cndmask_b32_e64 v0, v60, v46, s14
	s_and_b32 s44, s22, s12
	s_and_b32 s62, s23, s13
	;; [unrolled: 1-line block ×4, first 2 shown]
	v_xor_b32_e32 v0, v0, v48
	s_and_b32 s24, s24, s16
	s_and_b32 s8, s82, s21
	;; [unrolled: 1-line block ×4, first 2 shown]
	v_sub_nc_u32_e32 v0, v0, v48
	s_and_b32 s11, s68, s21
	s_and_b32 s12, s69, s21
	;; [unrolled: 1-line block ×4, first 2 shown]
	v_or_b32_e32 v49, v0, v49
	s_and_b32 s15, s90, s21
	s_and_b32 s16, s92, s21
	;; [unrolled: 1-line block ×4, first 2 shown]
	v_or_b32_e32 v74, v49, v54
	v_dual_add_nc_u32 v46, v0, v50 :: v_dual_bitop2_b32 v5, v0, v5 bitop3:0x54
	v_dual_add_nc_u32 v48, v0, v53 :: v_dual_bitop2_b32 v52, v0, v52 bitop3:0x54
	v_mul_lo_u32 v65, v0, s38
	s_delay_alu instid0(VALU_DEP_3) | instskip(NEXT) | instid1(VALU_DEP_3)
	v_dual_add_nc_u32 v50, v0, v51 :: v_dual_bitop2_b32 v76, v5, v54 bitop3:0x54
	v_or_b32_e32 v60, v52, v56
	v_cmp_gt_i32_e64 s21, s51, v0
	v_or_b32_e32 v53, v49, v56
	v_or_b32_e32 v49, v49, v47
	v_or_b32_e32 v75, v52, v54
	v_or_b32_e32 v61, v52, v47
	v_dual_add_nc_u32 v52, v0, v59 :: v_dual_bitop2_b32 v77, v5, v56 bitop3:0x54
	v_dual_add_nc_u32 v58, v0, v58 :: v_dual_bitop2_b32 v5, v5, v47 bitop3:0x54
	v_dual_add_nc_u32 v54, v0, v62 :: v_dual_add_nc_u32 v56, v0, v63
	v_dual_add_nc_u32 v62, v0, v57 :: v_dual_ashrrev_i32 v51, 31, v50
	v_cmp_lt_i32_e64 s26, -1, v60
	s_delay_alu instid0(VALU_DEP_3)
	v_dual_add_nc_u32 v60, v0, v55 :: v_dual_ashrrev_i32 v55, 31, v54
	s_and_b32 s84, s44, s28
	s_and_b32 s88, s62, s28
	;; [unrolled: 1-line block ×6, first 2 shown]
	v_cmp_lt_i32_e64 s22, -1, v49
	v_cmp_lt_i32_e64 s24, -1, v5
	;; [unrolled: 1-line block ×3, first 2 shown]
	s_and_b32 s71, s21, s18
	s_and_b32 s72, s21, s20
	;; [unrolled: 1-line block ×3, first 2 shown]
	v_ashrrev_i32_e32 v49, 31, v48
	v_ashrrev_i32_e32 v53, 31, v52
	v_cmp_lt_i32_e64 s23, -1, v61
	v_cmp_lt_i32_e64 s18, -1, v74
	;; [unrolled: 1-line block ×5, first 2 shown]
	s_and_b32 s83, s29, s17
	v_cmp_eq_u32_e64 s29, v65, v64
	v_dual_ashrrev_i32 v35, 31, v34 :: v_dual_ashrrev_i32 v45, 31, v44
	v_dual_ashrrev_i32 v47, 31, v46 :: v_dual_ashrrev_i32 v57, 31, v56
	;; [unrolled: 1-line block ×3, first 2 shown]
	v_ashrrev_i32_e32 v63, 31, v62
	s_and_b32 s34, s71, s22
	s_and_b32 s35, s71, s25
	;; [unrolled: 1-line block ×27, first 2 shown]
	s_branch .LBB25_7
.LBB25_6:                               ;   in Loop: Header=BB25_7 Depth=2
	s_wait_xcnt 0x0
	s_or_b32 exec_lo, exec_lo, s17
	s_wait_loadcnt 0x1a
	v_fma_mix_f32 v0, v5, v0, v72 op_sel_hi:[0,1,0]
	v_add_nc_u64_e32 v[8:9], 54, v[8:9]
	v_dual_add_nc_u32 v71, 1, v71 :: v_dual_add_nc_u32 v4, s61, v4
	s_delay_alu instid0(VALU_DEP_3) | instskip(NEXT) | instid1(VALU_DEP_2)
	v_cndmask_b32_e32 v0, v72, v0, vcc_lo
	v_cmp_ge_i32_e64 s17, v71, v73
	s_wait_loadcnt 0x19
	s_delay_alu instid0(VALU_DEP_2) | instskip(SKIP_1) | instid1(VALU_DEP_1)
	v_fma_mix_f32 v5, v76, v74, v0 op_sel_hi:[0,1,0]
	s_or_b32 s99, s17, s99
	v_cndmask_b32_e64 v0, v0, v5, s8
	s_wait_loadcnt 0x18
	s_delay_alu instid0(VALU_DEP_1) | instskip(NEXT) | instid1(VALU_DEP_1)
	v_fma_mix_f32 v5, v75, v77, v0 op_sel_hi:[0,1,0]
	v_cndmask_b32_e64 v0, v0, v5, s18
	s_wait_loadcnt 0x17
	s_delay_alu instid0(VALU_DEP_1) | instskip(NEXT) | instid1(VALU_DEP_1)
	v_fma_mix_f32 v5, v80, v78, v0 op_sel_hi:[0,1,0]
	;; [unrolled: 4-line block ×25, first 2 shown]
	v_cndmask_b32_e64 v72, v0, v5, s26
	s_and_not1_b32 exec_lo, exec_lo, s99
	s_cbranch_execz .LBB25_2
.LBB25_7:                               ;   Parent Loop BB25_4 Depth=1
                                        ; =>  This Inner Loop Header: Depth=2
	global_load_u16 v0, v[8:9], off
	v_ashrrev_i32_e32 v5, 31, v4
	s_delay_alu instid0(VALU_DEP_1)
	v_lshl_add_u64 v[64:65], v[4:5], 1, v[6:7]
	v_mov_b32_e32 v5, 0
	s_wait_xcnt 0x0
	s_and_saveexec_b32 s17, s100
	s_cbranch_execz .LBB25_9
; %bb.8:                                ;   in Loop: Header=BB25_7 Depth=2
	v_lshl_add_u64 v[74:75], v[10:11], 1, v[64:65]
	global_load_u16 v5, v[74:75], off
	s_wait_loadcnt 0x0
	v_cvt_f32_f16_e32 v5, v5
.LBB25_9:                               ;   in Loop: Header=BB25_7 Depth=2
	s_wait_xcnt 0x0
	s_or_b32 exec_lo, exec_lo, s17
	global_load_u16 v74, v[8:9], off offset:2
	v_dual_mov_b32 v75, 0 :: v_dual_mov_b32 v76, 0
	s_wait_xcnt 0x0
	s_and_saveexec_b32 s17, s64
	s_cbranch_execz .LBB25_11
; %bb.10:                               ;   in Loop: Header=BB25_7 Depth=2
	v_lshl_add_u64 v[76:77], v[28:29], 1, v[64:65]
	global_load_u16 v76, v[76:77], off
	s_wait_loadcnt 0x0
	s_wait_xcnt 0x0
	v_cvt_f32_f16_e32 v76, v76
.LBB25_11:                              ;   in Loop: Header=BB25_7 Depth=2
	s_or_b32 exec_lo, exec_lo, s17
	global_load_u16 v77, v[8:9], off offset:4
	s_wait_xcnt 0x0
	s_and_saveexec_b32 s17, s29
	s_cbranch_execz .LBB25_13
; %bb.12:                               ;   in Loop: Header=BB25_7 Depth=2
	v_lshl_add_u64 v[78:79], v[46:47], 1, v[64:65]
	global_load_u16 v75, v[78:79], off
	s_wait_loadcnt 0x0
	v_cvt_f32_f16_e32 v75, v75
.LBB25_13:                              ;   in Loop: Header=BB25_7 Depth=2
	s_wait_xcnt 0x0
	s_or_b32 exec_lo, exec_lo, s17
	global_load_u16 v78, v[8:9], off offset:6
	v_dual_mov_b32 v79, 0 :: v_dual_mov_b32 v80, 0
	s_wait_xcnt 0x0
	s_and_saveexec_b32 s17, s102
	s_cbranch_execz .LBB25_15
; %bb.14:                               ;   in Loop: Header=BB25_7 Depth=2
	v_lshl_add_u64 v[80:81], v[14:15], 1, v[64:65]
	global_load_u16 v80, v[80:81], off
	s_wait_loadcnt 0x0
	s_wait_xcnt 0x0
	v_cvt_f32_f16_e32 v80, v80
.LBB25_15:                              ;   in Loop: Header=BB25_7 Depth=2
	s_or_b32 exec_lo, exec_lo, s17
	global_load_u16 v81, v[8:9], off offset:8
	s_wait_xcnt 0x0
	s_and_saveexec_b32 s17, s65
	s_cbranch_execz .LBB25_17
; %bb.16:                               ;   in Loop: Header=BB25_7 Depth=2
	v_lshl_add_u64 v[82:83], v[30:31], 1, v[64:65]
	global_load_u16 v79, v[82:83], off
	s_wait_loadcnt 0x0
	v_cvt_f32_f16_e32 v79, v79
.LBB25_17:                              ;   in Loop: Header=BB25_7 Depth=2
	;; [unrolled: 25-line block ×11, first 2 shown]
	s_wait_xcnt 0x0
	s_or_b32 exec_lo, exec_lo, s17
	global_load_u16 v118, v[8:9], off offset:46
	v_dual_mov_b32 v119, 0 :: v_dual_mov_b32 v120, 0
	s_wait_xcnt 0x0
	s_and_saveexec_b32 s17, s67
	s_cbranch_execz .LBB25_55
; %bb.54:                               ;   in Loop: Header=BB25_7 Depth=2
	v_lshl_add_u64 v[120:121], v[60:61], 1, v[64:65]
	global_load_u16 v120, v[120:121], off
	s_wait_loadcnt 0x0
	s_wait_xcnt 0x0
	v_cvt_f32_f16_e32 v120, v120
.LBB25_55:                              ;   in Loop: Header=BB25_7 Depth=2
	s_or_b32 exec_lo, exec_lo, s17
	global_load_u16 v121, v[8:9], off offset:48
	s_wait_xcnt 0x0
	s_and_saveexec_b32 s17, vcc_hi
	s_cbranch_execz .LBB25_57
; %bb.56:                               ;   in Loop: Header=BB25_7 Depth=2
	v_lshl_add_u64 v[122:123], v[20:21], 1, v[64:65]
	global_load_u16 v119, v[122:123], off
	s_wait_loadcnt 0x0
	v_cvt_f32_f16_e32 v119, v119
.LBB25_57:                              ;   in Loop: Header=BB25_7 Depth=2
	s_wait_xcnt 0x0
	s_or_b32 exec_lo, exec_lo, s17
	global_load_u16 v123, v[8:9], off offset:50
	v_dual_mov_b32 v122, 0 :: v_dual_mov_b32 v124, 0
	s_wait_xcnt 0x0
	s_and_saveexec_b32 s17, s44
	s_cbranch_execz .LBB25_59
; %bb.58:                               ;   in Loop: Header=BB25_7 Depth=2
	v_lshl_add_u64 v[124:125], v[44:45], 1, v[64:65]
	global_load_u16 v124, v[124:125], off
	s_wait_loadcnt 0x0
	s_wait_xcnt 0x0
	v_cvt_f32_f16_e32 v124, v124
.LBB25_59:                              ;   in Loop: Header=BB25_7 Depth=2
	s_or_b32 exec_lo, exec_lo, s17
	global_load_u16 v125, v[8:9], off offset:52
	s_wait_xcnt 0x0
	s_and_saveexec_b32 s17, s27
	s_cbranch_execz .LBB25_6
; %bb.60:                               ;   in Loop: Header=BB25_7 Depth=2
	v_lshl_add_u64 v[64:65], v[62:63], 1, v[64:65]
	global_load_u16 v64, v[64:65], off
	s_wait_loadcnt 0x0
	v_cvt_f32_f16_e32 v122, v64
	s_branch .LBB25_6
.LBB25_61:                              ;   in Loop: Header=BB25_4 Depth=1
	v_mov_b32_e32 v0, 0
	s_branch .LBB25_3
.LBB25_62:
	s_sendmsg sendmsg(MSG_DEALLOC_VGPRS)
	s_endpgm
	.section	.rodata,"a",@progbits
	.p2align	6, 0x0
	.amdhsa_kernel _ZN2at6native12_GLOBAL__N_143conv_depthwise3d_cuda_backward_input_kernelIN3c104HalfEfLi3ELi3ELi3ELin1ELin1ELin1ELin1ELin1ELin1EEEvN5torch10headeronly6detail27GenericPackedTensorAccessorINS7_14TensorAccessorINS3_8ArrayRefIlEEKT_Lm4ENS6_16DefaultPtrTraitsEiEENS_6detail16IndexBoundsCheckILm5EiEESD_Lm5ESE_iEENS8_INS9_ISB_SC_Lm4ESE_iEESI_SC_Lm5ESE_iEESJ_iiiiiiiii
		.amdhsa_group_segment_fixed_size 0
		.amdhsa_private_segment_fixed_size 0
		.amdhsa_kernarg_size 440
		.amdhsa_user_sgpr_count 2
		.amdhsa_user_sgpr_dispatch_ptr 0
		.amdhsa_user_sgpr_queue_ptr 0
		.amdhsa_user_sgpr_kernarg_segment_ptr 1
		.amdhsa_user_sgpr_dispatch_id 0
		.amdhsa_user_sgpr_kernarg_preload_length 0
		.amdhsa_user_sgpr_kernarg_preload_offset 0
		.amdhsa_user_sgpr_private_segment_size 0
		.amdhsa_wavefront_size32 1
		.amdhsa_uses_dynamic_stack 0
		.amdhsa_enable_private_segment 0
		.amdhsa_system_sgpr_workgroup_id_x 1
		.amdhsa_system_sgpr_workgroup_id_y 0
		.amdhsa_system_sgpr_workgroup_id_z 0
		.amdhsa_system_sgpr_workgroup_info 0
		.amdhsa_system_vgpr_workitem_id 0
		.amdhsa_next_free_vgpr 127
		.amdhsa_next_free_sgpr 105
		.amdhsa_named_barrier_count 0
		.amdhsa_reserve_vcc 1
		.amdhsa_float_round_mode_32 0
		.amdhsa_float_round_mode_16_64 0
		.amdhsa_float_denorm_mode_32 3
		.amdhsa_float_denorm_mode_16_64 3
		.amdhsa_fp16_overflow 0
		.amdhsa_memory_ordered 1
		.amdhsa_forward_progress 1
		.amdhsa_inst_pref_size 55
		.amdhsa_round_robin_scheduling 0
		.amdhsa_exception_fp_ieee_invalid_op 0
		.amdhsa_exception_fp_denorm_src 0
		.amdhsa_exception_fp_ieee_div_zero 0
		.amdhsa_exception_fp_ieee_overflow 0
		.amdhsa_exception_fp_ieee_underflow 0
		.amdhsa_exception_fp_ieee_inexact 0
		.amdhsa_exception_int_div_zero 0
	.end_amdhsa_kernel
	.section	.text._ZN2at6native12_GLOBAL__N_143conv_depthwise3d_cuda_backward_input_kernelIN3c104HalfEfLi3ELi3ELi3ELin1ELin1ELin1ELin1ELin1ELin1EEEvN5torch10headeronly6detail27GenericPackedTensorAccessorINS7_14TensorAccessorINS3_8ArrayRefIlEEKT_Lm4ENS6_16DefaultPtrTraitsEiEENS_6detail16IndexBoundsCheckILm5EiEESD_Lm5ESE_iEENS8_INS9_ISB_SC_Lm4ESE_iEESI_SC_Lm5ESE_iEESJ_iiiiiiiii,"axG",@progbits,_ZN2at6native12_GLOBAL__N_143conv_depthwise3d_cuda_backward_input_kernelIN3c104HalfEfLi3ELi3ELi3ELin1ELin1ELin1ELin1ELin1ELin1EEEvN5torch10headeronly6detail27GenericPackedTensorAccessorINS7_14TensorAccessorINS3_8ArrayRefIlEEKT_Lm4ENS6_16DefaultPtrTraitsEiEENS_6detail16IndexBoundsCheckILm5EiEESD_Lm5ESE_iEENS8_INS9_ISB_SC_Lm4ESE_iEESI_SC_Lm5ESE_iEESJ_iiiiiiiii,comdat
.Lfunc_end25:
	.size	_ZN2at6native12_GLOBAL__N_143conv_depthwise3d_cuda_backward_input_kernelIN3c104HalfEfLi3ELi3ELi3ELin1ELin1ELin1ELin1ELin1ELin1EEEvN5torch10headeronly6detail27GenericPackedTensorAccessorINS7_14TensorAccessorINS3_8ArrayRefIlEEKT_Lm4ENS6_16DefaultPtrTraitsEiEENS_6detail16IndexBoundsCheckILm5EiEESD_Lm5ESE_iEENS8_INS9_ISB_SC_Lm4ESE_iEESI_SC_Lm5ESE_iEESJ_iiiiiiiii, .Lfunc_end25-_ZN2at6native12_GLOBAL__N_143conv_depthwise3d_cuda_backward_input_kernelIN3c104HalfEfLi3ELi3ELi3ELin1ELin1ELin1ELin1ELin1ELin1EEEvN5torch10headeronly6detail27GenericPackedTensorAccessorINS7_14TensorAccessorINS3_8ArrayRefIlEEKT_Lm4ENS6_16DefaultPtrTraitsEiEENS_6detail16IndexBoundsCheckILm5EiEESD_Lm5ESE_iEENS8_INS9_ISB_SC_Lm4ESE_iEESI_SC_Lm5ESE_iEESJ_iiiiiiiii
                                        ; -- End function
	.set _ZN2at6native12_GLOBAL__N_143conv_depthwise3d_cuda_backward_input_kernelIN3c104HalfEfLi3ELi3ELi3ELin1ELin1ELin1ELin1ELin1ELin1EEEvN5torch10headeronly6detail27GenericPackedTensorAccessorINS7_14TensorAccessorINS3_8ArrayRefIlEEKT_Lm4ENS6_16DefaultPtrTraitsEiEENS_6detail16IndexBoundsCheckILm5EiEESD_Lm5ESE_iEENS8_INS9_ISB_SC_Lm4ESE_iEESI_SC_Lm5ESE_iEESJ_iiiiiiiii.num_vgpr, 127
	.set _ZN2at6native12_GLOBAL__N_143conv_depthwise3d_cuda_backward_input_kernelIN3c104HalfEfLi3ELi3ELi3ELin1ELin1ELin1ELin1ELin1ELin1EEEvN5torch10headeronly6detail27GenericPackedTensorAccessorINS7_14TensorAccessorINS3_8ArrayRefIlEEKT_Lm4ENS6_16DefaultPtrTraitsEiEENS_6detail16IndexBoundsCheckILm5EiEESD_Lm5ESE_iEENS8_INS9_ISB_SC_Lm4ESE_iEESI_SC_Lm5ESE_iEESJ_iiiiiiiii.num_agpr, 0
	.set _ZN2at6native12_GLOBAL__N_143conv_depthwise3d_cuda_backward_input_kernelIN3c104HalfEfLi3ELi3ELi3ELin1ELin1ELin1ELin1ELin1ELin1EEEvN5torch10headeronly6detail27GenericPackedTensorAccessorINS7_14TensorAccessorINS3_8ArrayRefIlEEKT_Lm4ENS6_16DefaultPtrTraitsEiEENS_6detail16IndexBoundsCheckILm5EiEESD_Lm5ESE_iEENS8_INS9_ISB_SC_Lm4ESE_iEESI_SC_Lm5ESE_iEESJ_iiiiiiiii.numbered_sgpr, 105
	.set _ZN2at6native12_GLOBAL__N_143conv_depthwise3d_cuda_backward_input_kernelIN3c104HalfEfLi3ELi3ELi3ELin1ELin1ELin1ELin1ELin1ELin1EEEvN5torch10headeronly6detail27GenericPackedTensorAccessorINS7_14TensorAccessorINS3_8ArrayRefIlEEKT_Lm4ENS6_16DefaultPtrTraitsEiEENS_6detail16IndexBoundsCheckILm5EiEESD_Lm5ESE_iEENS8_INS9_ISB_SC_Lm4ESE_iEESI_SC_Lm5ESE_iEESJ_iiiiiiiii.num_named_barrier, 0
	.set _ZN2at6native12_GLOBAL__N_143conv_depthwise3d_cuda_backward_input_kernelIN3c104HalfEfLi3ELi3ELi3ELin1ELin1ELin1ELin1ELin1ELin1EEEvN5torch10headeronly6detail27GenericPackedTensorAccessorINS7_14TensorAccessorINS3_8ArrayRefIlEEKT_Lm4ENS6_16DefaultPtrTraitsEiEENS_6detail16IndexBoundsCheckILm5EiEESD_Lm5ESE_iEENS8_INS9_ISB_SC_Lm4ESE_iEESI_SC_Lm5ESE_iEESJ_iiiiiiiii.private_seg_size, 0
	.set _ZN2at6native12_GLOBAL__N_143conv_depthwise3d_cuda_backward_input_kernelIN3c104HalfEfLi3ELi3ELi3ELin1ELin1ELin1ELin1ELin1ELin1EEEvN5torch10headeronly6detail27GenericPackedTensorAccessorINS7_14TensorAccessorINS3_8ArrayRefIlEEKT_Lm4ENS6_16DefaultPtrTraitsEiEENS_6detail16IndexBoundsCheckILm5EiEESD_Lm5ESE_iEENS8_INS9_ISB_SC_Lm4ESE_iEESI_SC_Lm5ESE_iEESJ_iiiiiiiii.uses_vcc, 1
	.set _ZN2at6native12_GLOBAL__N_143conv_depthwise3d_cuda_backward_input_kernelIN3c104HalfEfLi3ELi3ELi3ELin1ELin1ELin1ELin1ELin1ELin1EEEvN5torch10headeronly6detail27GenericPackedTensorAccessorINS7_14TensorAccessorINS3_8ArrayRefIlEEKT_Lm4ENS6_16DefaultPtrTraitsEiEENS_6detail16IndexBoundsCheckILm5EiEESD_Lm5ESE_iEENS8_INS9_ISB_SC_Lm4ESE_iEESI_SC_Lm5ESE_iEESJ_iiiiiiiii.uses_flat_scratch, 0
	.set _ZN2at6native12_GLOBAL__N_143conv_depthwise3d_cuda_backward_input_kernelIN3c104HalfEfLi3ELi3ELi3ELin1ELin1ELin1ELin1ELin1ELin1EEEvN5torch10headeronly6detail27GenericPackedTensorAccessorINS7_14TensorAccessorINS3_8ArrayRefIlEEKT_Lm4ENS6_16DefaultPtrTraitsEiEENS_6detail16IndexBoundsCheckILm5EiEESD_Lm5ESE_iEENS8_INS9_ISB_SC_Lm4ESE_iEESI_SC_Lm5ESE_iEESJ_iiiiiiiii.has_dyn_sized_stack, 0
	.set _ZN2at6native12_GLOBAL__N_143conv_depthwise3d_cuda_backward_input_kernelIN3c104HalfEfLi3ELi3ELi3ELin1ELin1ELin1ELin1ELin1ELin1EEEvN5torch10headeronly6detail27GenericPackedTensorAccessorINS7_14TensorAccessorINS3_8ArrayRefIlEEKT_Lm4ENS6_16DefaultPtrTraitsEiEENS_6detail16IndexBoundsCheckILm5EiEESD_Lm5ESE_iEENS8_INS9_ISB_SC_Lm4ESE_iEESI_SC_Lm5ESE_iEESJ_iiiiiiiii.has_recursion, 0
	.set _ZN2at6native12_GLOBAL__N_143conv_depthwise3d_cuda_backward_input_kernelIN3c104HalfEfLi3ELi3ELi3ELin1ELin1ELin1ELin1ELin1ELin1EEEvN5torch10headeronly6detail27GenericPackedTensorAccessorINS7_14TensorAccessorINS3_8ArrayRefIlEEKT_Lm4ENS6_16DefaultPtrTraitsEiEENS_6detail16IndexBoundsCheckILm5EiEESD_Lm5ESE_iEENS8_INS9_ISB_SC_Lm4ESE_iEESI_SC_Lm5ESE_iEESJ_iiiiiiiii.has_indirect_call, 0
	.section	.AMDGPU.csdata,"",@progbits
; Kernel info:
; codeLenInByte = 6940
; TotalNumSgprs: 107
; NumVgprs: 127
; ScratchSize: 0
; MemoryBound: 0
; FloatMode: 240
; IeeeMode: 1
; LDSByteSize: 0 bytes/workgroup (compile time only)
; SGPRBlocks: 0
; VGPRBlocks: 7
; NumSGPRsForWavesPerEU: 107
; NumVGPRsForWavesPerEU: 127
; NamedBarCnt: 0
; Occupancy: 8
; WaveLimiterHint : 0
; COMPUTE_PGM_RSRC2:SCRATCH_EN: 0
; COMPUTE_PGM_RSRC2:USER_SGPR: 2
; COMPUTE_PGM_RSRC2:TRAP_HANDLER: 0
; COMPUTE_PGM_RSRC2:TGID_X_EN: 1
; COMPUTE_PGM_RSRC2:TGID_Y_EN: 0
; COMPUTE_PGM_RSRC2:TGID_Z_EN: 0
; COMPUTE_PGM_RSRC2:TIDIG_COMP_CNT: 0
	.section	.text._ZN2at6native12_GLOBAL__N_143conv_depthwise3d_cuda_backward_input_kernelIN3c104HalfEfLin1ELin1ELin1ELin1ELin1ELin1ELin1ELin1ELin1EEEvN5torch10headeronly6detail27GenericPackedTensorAccessorINS7_14TensorAccessorINS3_8ArrayRefIlEEKT_Lm4ENS6_16DefaultPtrTraitsEiEENS_6detail16IndexBoundsCheckILm5EiEESD_Lm5ESE_iEENS8_INS9_ISB_SC_Lm4ESE_iEESI_SC_Lm5ESE_iEESJ_iiiiiiiii,"axG",@progbits,_ZN2at6native12_GLOBAL__N_143conv_depthwise3d_cuda_backward_input_kernelIN3c104HalfEfLin1ELin1ELin1ELin1ELin1ELin1ELin1ELin1ELin1EEEvN5torch10headeronly6detail27GenericPackedTensorAccessorINS7_14TensorAccessorINS3_8ArrayRefIlEEKT_Lm4ENS6_16DefaultPtrTraitsEiEENS_6detail16IndexBoundsCheckILm5EiEESD_Lm5ESE_iEENS8_INS9_ISB_SC_Lm4ESE_iEESI_SC_Lm5ESE_iEESJ_iiiiiiiii,comdat
	.globl	_ZN2at6native12_GLOBAL__N_143conv_depthwise3d_cuda_backward_input_kernelIN3c104HalfEfLin1ELin1ELin1ELin1ELin1ELin1ELin1ELin1ELin1EEEvN5torch10headeronly6detail27GenericPackedTensorAccessorINS7_14TensorAccessorINS3_8ArrayRefIlEEKT_Lm4ENS6_16DefaultPtrTraitsEiEENS_6detail16IndexBoundsCheckILm5EiEESD_Lm5ESE_iEENS8_INS9_ISB_SC_Lm4ESE_iEESI_SC_Lm5ESE_iEESJ_iiiiiiiii ; -- Begin function _ZN2at6native12_GLOBAL__N_143conv_depthwise3d_cuda_backward_input_kernelIN3c104HalfEfLin1ELin1ELin1ELin1ELin1ELin1ELin1ELin1ELin1EEEvN5torch10headeronly6detail27GenericPackedTensorAccessorINS7_14TensorAccessorINS3_8ArrayRefIlEEKT_Lm4ENS6_16DefaultPtrTraitsEiEENS_6detail16IndexBoundsCheckILm5EiEESD_Lm5ESE_iEENS8_INS9_ISB_SC_Lm4ESE_iEESI_SC_Lm5ESE_iEESJ_iiiiiiiii
	.p2align	8
	.type	_ZN2at6native12_GLOBAL__N_143conv_depthwise3d_cuda_backward_input_kernelIN3c104HalfEfLin1ELin1ELin1ELin1ELin1ELin1ELin1ELin1ELin1EEEvN5torch10headeronly6detail27GenericPackedTensorAccessorINS7_14TensorAccessorINS3_8ArrayRefIlEEKT_Lm4ENS6_16DefaultPtrTraitsEiEENS_6detail16IndexBoundsCheckILm5EiEESD_Lm5ESE_iEENS8_INS9_ISB_SC_Lm4ESE_iEESI_SC_Lm5ESE_iEESJ_iiiiiiiii,@function
_ZN2at6native12_GLOBAL__N_143conv_depthwise3d_cuda_backward_input_kernelIN3c104HalfEfLin1ELin1ELin1ELin1ELin1ELin1ELin1ELin1ELin1EEEvN5torch10headeronly6detail27GenericPackedTensorAccessorINS7_14TensorAccessorINS3_8ArrayRefIlEEKT_Lm4ENS6_16DefaultPtrTraitsEiEENS_6detail16IndexBoundsCheckILm5EiEESD_Lm5ESE_iEENS8_INS9_ISB_SC_Lm4ESE_iEESI_SC_Lm5ESE_iEESJ_iiiiiiiii: ; @_ZN2at6native12_GLOBAL__N_143conv_depthwise3d_cuda_backward_input_kernelIN3c104HalfEfLin1ELin1ELin1ELin1ELin1ELin1ELin1ELin1ELin1EEEvN5torch10headeronly6detail27GenericPackedTensorAccessorINS7_14TensorAccessorINS3_8ArrayRefIlEEKT_Lm4ENS6_16DefaultPtrTraitsEiEENS_6detail16IndexBoundsCheckILm5EiEESD_Lm5ESE_iEENS8_INS9_ISB_SC_Lm4ESE_iEESI_SC_Lm5ESE_iEESJ_iiiiiiiii
; %bb.0:
	s_clause 0x1
	s_load_b128 s[16:19], s[0:1], 0x38
	s_load_b32 s2, s[0:1], 0xc4
	s_bfe_u32 s3, ttmp6, 0x4000c
	s_load_b64 s[6:7], s[0:1], 0x48
	s_add_co_i32 s3, s3, 1
	s_and_b32 s4, ttmp6, 15
	s_mul_i32 s3, ttmp9, s3
	s_getreg_b32 s5, hwreg(HW_REG_IB_STS2, 6, 4)
	v_mov_b32_e32 v1, 0
	s_add_co_i32 s4, s4, s3
	s_mov_b32 s37, 0
	s_wait_kmcnt 0x0
	s_abs_i32 s33, s17
	s_and_b32 s2, s2, 0xffff
	s_cmp_eq_u32 s5, 0
	s_mul_i32 s34, s7, s16
	s_cselect_b32 s3, ttmp9, s4
	s_ashr_i32 s35, s34, 31
	v_mad_nc_u64_u32 v[2:3], s2, s3, v[0:1]
	s_cvt_f32_u32 s3, s33
	s_mov_b32 s4, exec_lo
	s_delay_alu instid0(SALU_CYCLE_2) | instskip(SKIP_1) | instid1(TRANS32_DEP_1)
	v_rcp_iflag_f32_e32 v0, s3
	v_nop
	v_readfirstlane_b32 s3, v0
	s_delay_alu instid0(VALU_DEP_3)
	v_cmpx_gt_i64_e64 s[34:35], v[2:3]
	s_cbranch_execz .LBB26_19
; %bb.1:
	s_clause 0x1
	s_load_b128 s[20:23], s[0:1], 0xc
	s_load_b64 s[38:39], s[0:1], 0x0
	s_mul_f32 s3, s3, 0x4f7ffffe
	s_sub_co_i32 s52, 0, s33
	s_mov_b32 s5, s37
	s_load_b128 s[24:27], s[0:1], 0x70
	s_cvt_u32_f32 s3, s3
	s_ashr_i32 s16, s17, 31
	s_add_nc_u64 s[28:29], s[0:1], 0xb8
	s_clause 0x1
	s_load_b64 s[40:41], s[0:1], 0x1c
	s_load_b64 s[42:43], s[0:1], 0x30
	s_mul_i32 s4, s52, s3
	s_load_b256 s[8:15], s[0:1], 0x90
	s_mul_hi_u32 s4, s3, s4
	s_mov_b32 s47, s37
	s_add_co_i32 s4, s3, s4
	s_mov_b32 s49, s37
	s_mov_b32 s51, s37
	;; [unrolled: 1-line block ×5, first 2 shown]
	s_wait_kmcnt 0x0
	s_abs_i32 s36, s20
	s_ashr_i32 s3, s20, 31
	s_mul_u64 s[4:5], s[36:37], s[4:5]
	s_xor_b32 s3, s3, s16
	s_mul_i32 s4, s5, s33
	s_add_co_i32 s30, s5, 1
	s_sub_co_i32 s4, s36, s4
	s_load_b32 s20, s[0:1], 0xb0
	s_sub_co_i32 s31, s4, s33
	s_cmp_ge_u32 s4, s33
	s_mov_b32 s59, s37
	s_cselect_b32 s5, s30, s5
	s_cselect_b32 s4, s31, s4
	s_add_co_i32 s30, s5, 1
	s_cmp_ge_u32 s4, s33
	s_mov_b32 s77, s37
	s_cselect_b32 s4, s30, s5
	s_load_b32 s5, s[28:29], 0x0
	s_xor_b32 s4, s4, s3
	s_load_b64 s[44:45], s[0:1], 0x60
	s_wait_xcnt 0x0
	s_load_b128 s[28:31], s[0:1], 0x50
	s_sub_co_i32 s60, s4, s3
	s_cmp_gt_i32 s24, 0
	s_wait_xcnt 0x0
	v_readfirstlane_b32 s0, v0
	s_cselect_b32 s61, -1, 0
	s_cmp_gt_i32 s25, 0
	s_cselect_b32 s62, -1, 0
	s_cmp_gt_i32 s26, 0
	s_mul_f32 s0, s0, 0x4f7ffffe
	s_cselect_b32 s63, -1, 0
	s_cmp_gt_i32 s60, 0
	s_cselect_b32 s64, -1, 0
	s_abs_i32 s66, s19
	s_abs_i32 s65, s6
	s_cvt_f32_u32 s3, s66
	s_cvt_f32_u32 s1, s65
	s_abs_i32 s67, s18
	s_wait_kmcnt 0x0
	s_mul_i32 s36, s5, s2
	v_rcp_iflag_f32_e32 v4, s3
	v_rcp_iflag_f32_e32 v0, s1
	s_cvt_f32_u32 s2, s67
	s_abs_i32 s70, s8
	s_sub_co_i32 s4, 0, s66
	s_cvt_f32_u32 s46, s70
	v_rcp_iflag_f32_e32 v5, s2
	v_readfirstlane_b32 s3, v4
	v_readfirstlane_b32 s2, v0
	v_rcp_iflag_f32_e32 v0, s46
	s_sub_co_i32 s1, 0, s65
	s_abs_i32 s72, s9
	s_mul_f32 s3, s3, 0x4f7ffffe
	v_readfirstlane_b32 s5, v5
	s_mul_f32 s2, s2, 0x4f7ffffe
	s_sub_co_i32 s50, 0, s67
	s_cvt_u32_f32 s3, s3
	s_cvt_u32_f32 s0, s0
	;; [unrolled: 1-line block ×3, first 2 shown]
	s_mul_f32 s5, s5, 0x4f7ffffe
	s_mul_i32 s4, s4, s3
	s_abs_i32 s73, s10
	s_mul_i32 s1, s1, s2
	s_mul_hi_u32 s4, s3, s4
	s_cvt_u32_f32 s5, s5
	s_mul_hi_u32 s1, s2, s1
	s_add_co_i32 s48, s3, s4
	s_cvt_f32_u32 s3, s72
	s_add_co_i32 s46, s2, s1
	v_readfirstlane_b32 s2, v0
	s_mul_i32 s50, s50, s5
	v_rcp_iflag_f32_e32 v0, s3
	s_mul_hi_u32 s1, s5, s50
	s_mul_i32 s52, s52, s0
	s_add_co_i32 s50, s5, s1
	s_mul_f32 s1, s2, 0x4f7ffffe
	s_cvt_f32_u32 s3, s73
	s_mul_hi_u32 s2, s0, s52
	s_ashr_i32 s68, s6, 31
	s_add_co_i32 s52, s0, s2
	s_cvt_u32_f32 s0, s1
	v_nop
	v_readfirstlane_b32 s1, v0
	v_rcp_iflag_f32_e32 v0, s3
	s_sub_co_i32 s2, 0, s70
	s_ashr_i32 s69, s19, 31
	s_mul_i32 s2, s2, s0
	s_mul_f32 s1, s1, 0x4f7ffffe
	s_mul_hi_u32 s2, s0, s2
	s_ashr_i32 s71, s18, 31
	v_nop
	v_readfirstlane_b32 s3, v0
	s_add_co_i32 s54, s0, s2
	s_cvt_u32_f32 s0, s1
	s_sub_co_i32 s1, 0, s72
	s_ashr_i32 s74, s8, 31
	s_mul_f32 s2, s3, 0x4f7ffffe
	s_mul_i32 s1, s1, s0
	s_ashr_i32 s75, s9, 31
	s_mul_hi_u32 s1, s0, s1
	s_cvt_u32_f32 s2, s2
	s_add_co_i32 s56, s0, s1
	s_sub_co_i32 s0, 0, s73
	s_ashr_i32 s76, s10, 31
	s_mul_i32 s0, s0, s2
	s_delay_alu instid0(SALU_CYCLE_1) | instskip(NEXT) | instid1(SALU_CYCLE_1)
	s_mul_hi_u32 s0, s2, s0
	s_add_co_i32 s58, s2, s0
	s_branch .LBB26_4
.LBB26_2:                               ;   in Loop: Header=BB26_4 Depth=1
	s_or_b32 exec_lo, exec_lo, s78
	v_cvt_f16_f32_e32 v0, v20
.LBB26_3:                               ;   in Loop: Header=BB26_4 Depth=1
	v_mul_lo_u32 v4, v13, s7
	v_mul_lo_u32 v6, s28, v14
	;; [unrolled: 1-line block ×5, first 2 shown]
	v_add_nc_u64_e32 v[2:3], s[36:37], v[2:3]
	v_dual_ashrrev_i32 v5, 31, v4 :: v_dual_ashrrev_i32 v7, 31, v6
	v_ashrrev_i32_e32 v9, 31, v8
	s_delay_alu instid0(VALU_DEP_4) | instskip(NEXT) | instid1(VALU_DEP_3)
	v_dual_ashrrev_i32 v13, 31, v12 :: v_dual_ashrrev_i32 v11, 31, v10
	v_lshl_add_u64 v[4:5], v[4:5], 1, s[42:43]
	v_cmp_le_i64_e32 vcc_lo, s[34:35], v[2:3]
	s_delay_alu instid0(VALU_DEP_2) | instskip(SKIP_1) | instid1(VALU_DEP_1)
	v_lshl_add_u64 v[4:5], v[6:7], 1, v[4:5]
	s_or_b32 s77, vcc_lo, s77
	v_lshl_add_u64 v[4:5], v[8:9], 1, v[4:5]
	s_delay_alu instid0(VALU_DEP_1) | instskip(NEXT) | instid1(VALU_DEP_1)
	v_lshl_add_u64 v[4:5], v[12:13], 1, v[4:5]
	v_lshl_add_u64 v[4:5], v[10:11], 1, v[4:5]
	global_store_b16 v[4:5], v0, off
	s_wait_xcnt 0x0
	s_and_not1_b32 exec_lo, exec_lo, s77
	s_cbranch_execz .LBB26_19
.LBB26_4:                               ; =>This Loop Header: Depth=1
                                        ;     Child Loop BB26_7 Depth 2
                                        ;       Child Loop BB26_10 Depth 3
                                        ;         Child Loop BB26_13 Depth 4
                                        ;           Child Loop BB26_16 Depth 5
	v_sub_nc_u32_e32 v0, 0, v2
	s_delay_alu instid0(VALU_DEP_1) | instskip(NEXT) | instid1(VALU_DEP_1)
	v_max_i32_e32 v0, v2, v0
	v_mul_u64_e32 v[4:5], s[46:47], v[0:1]
	s_delay_alu instid0(VALU_DEP_1) | instskip(NEXT) | instid1(VALU_DEP_1)
	v_mul_lo_u32 v4, v5, s65
	v_dual_sub_nc_u32 v0, v0, v4 :: v_dual_add_nc_u32 v4, 1, v5
	s_delay_alu instid0(VALU_DEP_1) | instskip(NEXT) | instid1(VALU_DEP_2)
	v_cmp_le_u32_e32 vcc_lo, s65, v0
	v_cndmask_b32_e32 v4, v5, v4, vcc_lo
	v_subrev_nc_u32_e32 v6, s65, v0
	v_ashrrev_i32_e32 v5, 31, v2
	s_delay_alu instid0(VALU_DEP_2) | instskip(NEXT) | instid1(VALU_DEP_1)
	v_dual_cndmask_b32 v0, v0, v6, vcc_lo :: v_dual_add_nc_u32 v6, 1, v4
	v_cmp_le_u32_e32 vcc_lo, s65, v0
	s_delay_alu instid0(VALU_DEP_2) | instskip(NEXT) | instid1(VALU_DEP_1)
	v_dual_cndmask_b32 v0, v4, v6, vcc_lo :: v_dual_bitop2_b32 v5, s68, v5 bitop3:0x14
	v_xor_b32_e32 v0, v0, v5
	s_delay_alu instid0(VALU_DEP_1) | instskip(NEXT) | instid1(VALU_DEP_1)
	v_sub_nc_u32_e32 v6, v0, v5
	v_sub_nc_u32_e32 v0, 0, v6
	s_delay_alu instid0(VALU_DEP_1) | instskip(NEXT) | instid1(VALU_DEP_1)
	v_max_i32_e32 v0, v6, v0
	v_mul_u64_e32 v[4:5], s[48:49], v[0:1]
	s_delay_alu instid0(VALU_DEP_1) | instskip(NEXT) | instid1(VALU_DEP_1)
	v_mul_lo_u32 v4, v5, s66
	v_dual_sub_nc_u32 v0, v0, v4 :: v_dual_add_nc_u32 v4, 1, v5
	s_delay_alu instid0(VALU_DEP_1) | instskip(SKIP_1) | instid1(VALU_DEP_2)
	v_subrev_nc_u32_e32 v7, s66, v0
	v_cmp_le_u32_e32 vcc_lo, s66, v0
	v_dual_cndmask_b32 v4, v5, v4, vcc_lo :: v_dual_cndmask_b32 v0, v0, v7, vcc_lo
	s_delay_alu instid0(VALU_DEP_1) | instskip(NEXT) | instid1(VALU_DEP_2)
	v_dual_ashrrev_i32 v5, 31, v6 :: v_dual_add_nc_u32 v7, 1, v4
	v_cmp_le_u32_e32 vcc_lo, s66, v0
	s_delay_alu instid0(VALU_DEP_2) | instskip(NEXT) | instid1(VALU_DEP_1)
	v_dual_cndmask_b32 v0, v4, v7, vcc_lo :: v_dual_bitop2_b32 v5, s69, v5 bitop3:0x14
	v_xor_b32_e32 v0, v0, v5
	s_delay_alu instid0(VALU_DEP_1) | instskip(NEXT) | instid1(VALU_DEP_1)
	v_sub_nc_u32_e32 v7, v0, v5
	v_sub_nc_u32_e32 v0, 0, v7
	s_delay_alu instid0(VALU_DEP_1) | instskip(NEXT) | instid1(VALU_DEP_1)
	v_max_i32_e32 v0, v7, v0
	v_mul_u64_e32 v[4:5], s[50:51], v[0:1]
	s_delay_alu instid0(VALU_DEP_1) | instskip(NEXT) | instid1(VALU_DEP_1)
	v_mul_lo_u32 v4, v5, s67
	v_dual_sub_nc_u32 v0, v0, v4 :: v_dual_add_nc_u32 v4, 1, v5
	s_delay_alu instid0(VALU_DEP_1) | instskip(SKIP_1) | instid1(VALU_DEP_3)
	v_subrev_nc_u32_e32 v8, s67, v0
	v_cmp_le_u32_e32 vcc_lo, s67, v0
	v_dual_cndmask_b32 v4, v5, v4 :: v_dual_ashrrev_i32 v5, 31, v7
	s_delay_alu instid0(VALU_DEP_1) | instskip(NEXT) | instid1(VALU_DEP_2)
	v_dual_cndmask_b32 v0, v0, v8, vcc_lo :: v_dual_bitop2_b32 v5, s71, v5 bitop3:0x14
	v_add_nc_u32_e32 v8, 1, v4
	s_delay_alu instid0(VALU_DEP_2) | instskip(NEXT) | instid1(VALU_DEP_2)
	v_cmp_le_u32_e32 vcc_lo, s67, v0
	v_cndmask_b32_e32 v0, v4, v8, vcc_lo
	s_delay_alu instid0(VALU_DEP_1) | instskip(NEXT) | instid1(VALU_DEP_1)
	v_xor_b32_e32 v0, v0, v5
	v_sub_nc_u32_e32 v8, v0, v5
	s_delay_alu instid0(VALU_DEP_1) | instskip(NEXT) | instid1(VALU_DEP_1)
	v_sub_nc_u32_e32 v0, 0, v8
	v_max_i32_e32 v0, v8, v0
	s_delay_alu instid0(VALU_DEP_1) | instskip(NEXT) | instid1(VALU_DEP_1)
	v_mul_u64_e32 v[4:5], s[52:53], v[0:1]
	v_mul_lo_u32 v4, v5, s33
	s_delay_alu instid0(VALU_DEP_1) | instskip(NEXT) | instid1(VALU_DEP_1)
	v_dual_sub_nc_u32 v0, v0, v4 :: v_dual_add_nc_u32 v4, 1, v5
	v_subrev_nc_u32_e32 v9, s33, v0
	v_cmp_le_u32_e32 vcc_lo, s33, v0
	s_delay_alu instid0(VALU_DEP_2) | instskip(SKIP_1) | instid1(VALU_DEP_2)
	v_dual_cndmask_b32 v4, v5, v4, vcc_lo :: v_dual_cndmask_b32 v0, v0, v9, vcc_lo
	v_ashrrev_i32_e32 v5, 31, v8
	v_add_nc_u32_e32 v9, 1, v4
	s_delay_alu instid0(VALU_DEP_3) | instskip(NEXT) | instid1(VALU_DEP_3)
	v_cmp_le_u32_e32 vcc_lo, s33, v0
	v_xor_b32_e32 v5, s16, v5
	s_delay_alu instid0(VALU_DEP_3) | instskip(SKIP_2) | instid1(VALU_DEP_1)
	v_cndmask_b32_e32 v0, v4, v9, vcc_lo
	v_mul_lo_u32 v4, v7, s19
	s_and_not1_b32 vcc_lo, exec_lo, s64
	v_dual_sub_nc_u32 v11, v6, v4 :: v_dual_bitop2_b32 v0, v0, v5 bitop3:0x14
	s_delay_alu instid0(VALU_DEP_1) | instskip(SKIP_2) | instid1(VALU_DEP_2)
	v_sub_nc_u32_e32 v13, v0, v5
	v_mul_lo_u32 v0, v6, s6
	v_mul_lo_u32 v5, v8, s18
	v_sub_nc_u32_e32 v10, v2, v0
	s_delay_alu instid0(VALU_DEP_4) | instskip(NEXT) | instid1(VALU_DEP_3)
	v_mul_lo_u32 v9, v13, s17
	v_sub_nc_u32_e32 v12, v7, v5
	s_delay_alu instid0(VALU_DEP_2)
	v_sub_nc_u32_e32 v14, v8, v9
	s_cbranch_vccnz .LBB26_18
; %bb.5:                                ;   in Loop: Header=BB26_4 Depth=1
	s_delay_alu instid0(VALU_DEP_1)
	v_mul_lo_u32 v15, v14, s60
	v_mul_lo_u32 v4, s40, v13
	v_dual_add_nc_u32 v16, s13, v10 :: v_dual_add_nc_u32 v18, s11, v12
	v_mov_b32_e32 v20, 0
	s_mov_b32 s78, 0
	v_add_nc_u32_e32 v17, s12, v11
	v_mul_lo_u32 v6, s27, v15
	v_dual_ashrrev_i32 v5, 31, v4 :: v_dual_add_nc_u32 v19, s60, v15
	s_delay_alu instid0(VALU_DEP_1) | instskip(NEXT) | instid1(VALU_DEP_3)
	v_lshl_add_u64 v[4:5], v[4:5], 1, s[38:39]
	v_ashrrev_i32_e32 v7, 31, v6
	s_delay_alu instid0(VALU_DEP_1)
	v_lshl_add_u64 v[6:7], v[6:7], 1, s[44:45]
	s_branch .LBB26_7
.LBB26_6:                               ;   in Loop: Header=BB26_7 Depth=2
	v_add_nc_u32_e32 v15, 1, v15
	s_delay_alu instid0(VALU_DEP_1) | instskip(SKIP_1) | instid1(SALU_CYCLE_1)
	v_cmp_ge_i32_e32 vcc_lo, v15, v19
	s_or_b32 s78, vcc_lo, s78
	s_and_not1_b32 exec_lo, exec_lo, s78
	s_cbranch_execz .LBB26_2
.LBB26_7:                               ;   Parent Loop BB26_4 Depth=1
                                        ; =>  This Loop Header: Depth=2
                                        ;       Child Loop BB26_10 Depth 3
                                        ;         Child Loop BB26_13 Depth 4
                                        ;           Child Loop BB26_16 Depth 5
	s_and_not1_b32 vcc_lo, exec_lo, s61
	s_cbranch_vccnz .LBB26_6
; %bb.8:                                ;   in Loop: Header=BB26_7 Depth=2
	v_mul_lo_u32 v8, s41, v15
	s_mov_b32 s79, 0
	s_delay_alu instid0(VALU_DEP_1) | instskip(NEXT) | instid1(VALU_DEP_1)
	v_ashrrev_i32_e32 v9, 31, v8
	v_lshl_add_u64 v[8:9], v[8:9], 1, v[4:5]
	s_branch .LBB26_10
.LBB26_9:                               ;   in Loop: Header=BB26_10 Depth=3
	s_add_co_i32 s79, s79, 1
	s_delay_alu instid0(SALU_CYCLE_1)
	s_cmp_eq_u32 s79, s24
	s_cbranch_scc1 .LBB26_6
.LBB26_10:                              ;   Parent Loop BB26_4 Depth=1
                                        ;     Parent Loop BB26_7 Depth=2
                                        ; =>    This Loop Header: Depth=3
                                        ;         Child Loop BB26_13 Depth 4
                                        ;           Child Loop BB26_16 Depth 5
	s_and_not1_b32 vcc_lo, exec_lo, s62
	s_cbranch_vccnz .LBB26_9
; %bb.11:                               ;   in Loop: Header=BB26_10 Depth=3
	s_mul_i32 s0, s14, s79
	s_mov_b32 s80, 0
	v_subrev_nc_u32_e32 v24, s0, v18
	s_delay_alu instid0(VALU_DEP_1) | instskip(NEXT) | instid1(VALU_DEP_1)
	v_sub_nc_u32_e32 v0, 0, v24
	v_max_i32_e32 v0, v24, v0
	s_delay_alu instid0(VALU_DEP_1) | instskip(NEXT) | instid1(VALU_DEP_1)
	v_mul_u64_e32 v[22:23], s[54:55], v[0:1]
	v_mul_lo_u32 v21, v23, s70
	s_delay_alu instid0(VALU_DEP_1) | instskip(NEXT) | instid1(VALU_DEP_1)
	v_dual_sub_nc_u32 v0, v0, v21 :: v_dual_add_nc_u32 v21, 1, v23
	v_cmp_le_u32_e32 vcc_lo, s70, v0
	s_delay_alu instid0(VALU_DEP_2) | instskip(SKIP_1) | instid1(VALU_DEP_1)
	v_dual_cndmask_b32 v21, v23, v21, vcc_lo :: v_dual_ashrrev_i32 v23, 31, v24
	v_subrev_nc_u32_e32 v22, s70, v0
	v_dual_cndmask_b32 v0, v0, v22, vcc_lo :: v_dual_add_nc_u32 v22, 1, v21
	s_delay_alu instid0(VALU_DEP_1) | instskip(NEXT) | instid1(VALU_DEP_2)
	v_cmp_le_u32_e32 vcc_lo, s70, v0
	v_dual_cndmask_b32 v0, v21, v22, vcc_lo :: v_dual_bitop2_b32 v23, s74, v23 bitop3:0x14
	s_delay_alu instid0(VALU_DEP_1) | instskip(NEXT) | instid1(VALU_DEP_1)
	v_xor_b32_e32 v0, v0, v23
	v_sub_nc_u32_e32 v0, v0, v23
	s_delay_alu instid0(VALU_DEP_1) | instskip(SKIP_3) | instid1(VALU_DEP_4)
	v_mul_lo_u32 v22, v0, s8
	v_mul_lo_u32 v21, v0, s22
	v_cmp_lt_i32_e64 s0, -1, v0
	v_cmp_gt_i32_e64 s1, s21, v0
	v_cmp_eq_u32_e64 s2, v22, v24
	s_branch .LBB26_13
.LBB26_12:                              ;   in Loop: Header=BB26_13 Depth=4
	s_add_co_i32 s80, s80, 1
	s_delay_alu instid0(SALU_CYCLE_1)
	s_cmp_eq_u32 s80, s25
	s_cbranch_scc1 .LBB26_9
.LBB26_13:                              ;   Parent Loop BB26_4 Depth=1
                                        ;     Parent Loop BB26_7 Depth=2
                                        ;       Parent Loop BB26_10 Depth=3
                                        ; =>      This Loop Header: Depth=4
                                        ;           Child Loop BB26_16 Depth 5
	s_and_not1_b32 vcc_lo, exec_lo, s63
	s_cbranch_vccnz .LBB26_12
; %bb.14:                               ;   in Loop: Header=BB26_13 Depth=4
	s_mul_i32 s3, s15, s80
	s_mov_b32 s82, s26
	v_subrev_nc_u32_e32 v24, s3, v17
	s_delay_alu instid0(VALU_DEP_1) | instskip(NEXT) | instid1(VALU_DEP_1)
	v_sub_nc_u32_e32 v0, 0, v24
	v_max_i32_e32 v0, v24, v0
	s_delay_alu instid0(VALU_DEP_1) | instskip(NEXT) | instid1(VALU_DEP_1)
	v_mul_u64_e32 v[22:23], s[56:57], v[0:1]
	v_mul_lo_u32 v22, v23, s72
	s_delay_alu instid0(VALU_DEP_1) | instskip(NEXT) | instid1(VALU_DEP_1)
	v_dual_sub_nc_u32 v0, v0, v22 :: v_dual_add_nc_u32 v22, 1, v23
	v_cmp_le_u32_e32 vcc_lo, s72, v0
	s_delay_alu instid0(VALU_DEP_2) | instskip(SKIP_1) | instid1(VALU_DEP_1)
	v_dual_cndmask_b32 v22, v23, v22 :: v_dual_ashrrev_i32 v23, 31, v24
	v_subrev_nc_u32_e32 v25, s72, v0
	v_dual_cndmask_b32 v0, v0, v25 :: v_dual_add_nc_u32 v25, 1, v22
	s_delay_alu instid0(VALU_DEP_1) | instskip(NEXT) | instid1(VALU_DEP_2)
	v_cmp_le_u32_e32 vcc_lo, s72, v0
	v_dual_cndmask_b32 v0, v22, v25, vcc_lo :: v_dual_bitop2_b32 v23, s75, v23 bitop3:0x14
	s_delay_alu instid0(VALU_DEP_1) | instskip(NEXT) | instid1(VALU_DEP_1)
	v_xor_b32_e32 v0, v0, v23
	v_sub_nc_u32_e32 v0, v0, v23
	s_delay_alu instid0(VALU_DEP_1) | instskip(SKIP_3) | instid1(VALU_DEP_3)
	v_mul_lo_u32 v23, v0, s9
	v_add_nc_u32_e32 v22, v0, v21
	v_cmp_gt_i32_e64 s3, s22, v0
	v_cmp_lt_i32_e32 vcc_lo, -1, v0
	v_mul_lo_u32 v22, v22, s23
	v_cmp_eq_u32_e64 s4, v23, v24
	v_mov_b32_e32 v23, v16
	s_and_b32 s81, s2, s4
	s_branch .LBB26_16
.LBB26_15:                              ;   in Loop: Header=BB26_16 Depth=5
	s_wait_xcnt 0x0
	s_or_b32 exec_lo, exec_lo, s4
	v_mul_lo_u32 v0, v0, s10
	v_add_nc_u64_e32 v[6:7], 2, v[6:7]
	s_add_co_i32 s82, s82, -1
	s_delay_alu instid0(VALU_DEP_2)
	v_cmp_eq_u32_e64 s4, v23, v0
	s_wait_loadcnt 0x0
	v_fma_mix_f32 v0, v25, v24, v20 op_sel_hi:[0,1,0]
	v_subrev_nc_u32_e32 v23, s20, v23
	s_and_b32 s4, s81, s4
	s_cmp_eq_u32 s82, 0
	s_delay_alu instid0(VALU_DEP_2)
	v_cndmask_b32_e64 v20, v20, v0, s4
	s_cbranch_scc1 .LBB26_12
.LBB26_16:                              ;   Parent Loop BB26_4 Depth=1
                                        ;     Parent Loop BB26_7 Depth=2
                                        ;       Parent Loop BB26_10 Depth=3
                                        ;         Parent Loop BB26_13 Depth=4
                                        ; =>        This Inner Loop Header: Depth=5
	global_load_u16 v24, v[6:7], off
	v_sub_nc_u32_e32 v0, 0, v23
	s_delay_alu instid0(VALU_DEP_1) | instskip(NEXT) | instid1(VALU_DEP_1)
	v_max_i32_e32 v0, v23, v0
	v_mul_u64_e32 v[26:27], s[58:59], v[0:1]
	s_delay_alu instid0(VALU_DEP_1) | instskip(NEXT) | instid1(VALU_DEP_1)
	v_mul_lo_u32 v25, v27, s73
	v_dual_sub_nc_u32 v0, v0, v25 :: v_dual_add_nc_u32 v25, 1, v27
	s_delay_alu instid0(VALU_DEP_1) | instskip(NEXT) | instid1(VALU_DEP_1)
	v_cmp_le_u32_e64 s4, s73, v0
	v_dual_cndmask_b32 v25, v27, v25, s4 :: v_dual_ashrrev_i32 v27, 31, v23
	v_subrev_nc_u32_e32 v26, s73, v0
	s_delay_alu instid0(VALU_DEP_1) | instskip(NEXT) | instid1(VALU_DEP_1)
	v_dual_cndmask_b32 v0, v0, v26, s4 :: v_dual_add_nc_u32 v26, 1, v25
	v_cmp_le_u32_e64 s4, s73, v0
	s_delay_alu instid0(VALU_DEP_1) | instskip(NEXT) | instid1(VALU_DEP_1)
	v_dual_cndmask_b32 v0, v25, v26, s4 :: v_dual_bitop2_b32 v27, s76, v27 bitop3:0x14
	v_dual_mov_b32 v25, 0 :: v_dual_bitop2_b32 v0, v0, v27 bitop3:0x14
	s_delay_alu instid0(VALU_DEP_1) | instskip(NEXT) | instid1(VALU_DEP_1)
	v_sub_nc_u32_e32 v0, v0, v27
	v_cmp_lt_i32_e64 s4, -1, v0
	v_cmp_gt_i32_e64 s5, s23, v0
	s_and_b32 s4, s4, vcc_lo
	s_delay_alu instid0(SALU_CYCLE_1) | instskip(NEXT) | instid1(SALU_CYCLE_1)
	s_and_b32 s4, s4, s0
	s_and_b32 s4, s5, s4
	s_delay_alu instid0(SALU_CYCLE_1) | instskip(NEXT) | instid1(SALU_CYCLE_1)
	s_and_b32 s4, s4, s3
	s_and_b32 s5, s4, s1
	s_wait_xcnt 0x0
	s_and_saveexec_b32 s4, s5
	s_cbranch_execz .LBB26_15
; %bb.17:                               ;   in Loop: Header=BB26_16 Depth=5
	v_add_nc_u32_e32 v26, v0, v22
	s_delay_alu instid0(VALU_DEP_1) | instskip(NEXT) | instid1(VALU_DEP_1)
	v_ashrrev_i32_e32 v27, 31, v26
	v_lshl_add_u64 v[26:27], v[26:27], 1, v[8:9]
	global_load_u16 v25, v[26:27], off
	s_wait_loadcnt 0x0
	v_cvt_f32_f16_e32 v25, v25
	s_branch .LBB26_15
.LBB26_18:                              ;   in Loop: Header=BB26_4 Depth=1
	v_mov_b32_e32 v0, 0
	s_branch .LBB26_3
.LBB26_19:
	s_endpgm
	.section	.rodata,"a",@progbits
	.p2align	6, 0x0
	.amdhsa_kernel _ZN2at6native12_GLOBAL__N_143conv_depthwise3d_cuda_backward_input_kernelIN3c104HalfEfLin1ELin1ELin1ELin1ELin1ELin1ELin1ELin1ELin1EEEvN5torch10headeronly6detail27GenericPackedTensorAccessorINS7_14TensorAccessorINS3_8ArrayRefIlEEKT_Lm4ENS6_16DefaultPtrTraitsEiEENS_6detail16IndexBoundsCheckILm5EiEESD_Lm5ESE_iEENS8_INS9_ISB_SC_Lm4ESE_iEESI_SC_Lm5ESE_iEESJ_iiiiiiiii
		.amdhsa_group_segment_fixed_size 0
		.amdhsa_private_segment_fixed_size 0
		.amdhsa_kernarg_size 440
		.amdhsa_user_sgpr_count 2
		.amdhsa_user_sgpr_dispatch_ptr 0
		.amdhsa_user_sgpr_queue_ptr 0
		.amdhsa_user_sgpr_kernarg_segment_ptr 1
		.amdhsa_user_sgpr_dispatch_id 0
		.amdhsa_user_sgpr_kernarg_preload_length 0
		.amdhsa_user_sgpr_kernarg_preload_offset 0
		.amdhsa_user_sgpr_private_segment_size 0
		.amdhsa_wavefront_size32 1
		.amdhsa_uses_dynamic_stack 0
		.amdhsa_enable_private_segment 0
		.amdhsa_system_sgpr_workgroup_id_x 1
		.amdhsa_system_sgpr_workgroup_id_y 0
		.amdhsa_system_sgpr_workgroup_id_z 0
		.amdhsa_system_sgpr_workgroup_info 0
		.amdhsa_system_vgpr_workitem_id 0
		.amdhsa_next_free_vgpr 28
		.amdhsa_next_free_sgpr 83
		.amdhsa_named_barrier_count 0
		.amdhsa_reserve_vcc 1
		.amdhsa_float_round_mode_32 0
		.amdhsa_float_round_mode_16_64 0
		.amdhsa_float_denorm_mode_32 3
		.amdhsa_float_denorm_mode_16_64 3
		.amdhsa_fp16_overflow 0
		.amdhsa_memory_ordered 1
		.amdhsa_forward_progress 1
		.amdhsa_inst_pref_size 18
		.amdhsa_round_robin_scheduling 0
		.amdhsa_exception_fp_ieee_invalid_op 0
		.amdhsa_exception_fp_denorm_src 0
		.amdhsa_exception_fp_ieee_div_zero 0
		.amdhsa_exception_fp_ieee_overflow 0
		.amdhsa_exception_fp_ieee_underflow 0
		.amdhsa_exception_fp_ieee_inexact 0
		.amdhsa_exception_int_div_zero 0
	.end_amdhsa_kernel
	.section	.text._ZN2at6native12_GLOBAL__N_143conv_depthwise3d_cuda_backward_input_kernelIN3c104HalfEfLin1ELin1ELin1ELin1ELin1ELin1ELin1ELin1ELin1EEEvN5torch10headeronly6detail27GenericPackedTensorAccessorINS7_14TensorAccessorINS3_8ArrayRefIlEEKT_Lm4ENS6_16DefaultPtrTraitsEiEENS_6detail16IndexBoundsCheckILm5EiEESD_Lm5ESE_iEENS8_INS9_ISB_SC_Lm4ESE_iEESI_SC_Lm5ESE_iEESJ_iiiiiiiii,"axG",@progbits,_ZN2at6native12_GLOBAL__N_143conv_depthwise3d_cuda_backward_input_kernelIN3c104HalfEfLin1ELin1ELin1ELin1ELin1ELin1ELin1ELin1ELin1EEEvN5torch10headeronly6detail27GenericPackedTensorAccessorINS7_14TensorAccessorINS3_8ArrayRefIlEEKT_Lm4ENS6_16DefaultPtrTraitsEiEENS_6detail16IndexBoundsCheckILm5EiEESD_Lm5ESE_iEENS8_INS9_ISB_SC_Lm4ESE_iEESI_SC_Lm5ESE_iEESJ_iiiiiiiii,comdat
.Lfunc_end26:
	.size	_ZN2at6native12_GLOBAL__N_143conv_depthwise3d_cuda_backward_input_kernelIN3c104HalfEfLin1ELin1ELin1ELin1ELin1ELin1ELin1ELin1ELin1EEEvN5torch10headeronly6detail27GenericPackedTensorAccessorINS7_14TensorAccessorINS3_8ArrayRefIlEEKT_Lm4ENS6_16DefaultPtrTraitsEiEENS_6detail16IndexBoundsCheckILm5EiEESD_Lm5ESE_iEENS8_INS9_ISB_SC_Lm4ESE_iEESI_SC_Lm5ESE_iEESJ_iiiiiiiii, .Lfunc_end26-_ZN2at6native12_GLOBAL__N_143conv_depthwise3d_cuda_backward_input_kernelIN3c104HalfEfLin1ELin1ELin1ELin1ELin1ELin1ELin1ELin1ELin1EEEvN5torch10headeronly6detail27GenericPackedTensorAccessorINS7_14TensorAccessorINS3_8ArrayRefIlEEKT_Lm4ENS6_16DefaultPtrTraitsEiEENS_6detail16IndexBoundsCheckILm5EiEESD_Lm5ESE_iEENS8_INS9_ISB_SC_Lm4ESE_iEESI_SC_Lm5ESE_iEESJ_iiiiiiiii
                                        ; -- End function
	.set _ZN2at6native12_GLOBAL__N_143conv_depthwise3d_cuda_backward_input_kernelIN3c104HalfEfLin1ELin1ELin1ELin1ELin1ELin1ELin1ELin1ELin1EEEvN5torch10headeronly6detail27GenericPackedTensorAccessorINS7_14TensorAccessorINS3_8ArrayRefIlEEKT_Lm4ENS6_16DefaultPtrTraitsEiEENS_6detail16IndexBoundsCheckILm5EiEESD_Lm5ESE_iEENS8_INS9_ISB_SC_Lm4ESE_iEESI_SC_Lm5ESE_iEESJ_iiiiiiiii.num_vgpr, 28
	.set _ZN2at6native12_GLOBAL__N_143conv_depthwise3d_cuda_backward_input_kernelIN3c104HalfEfLin1ELin1ELin1ELin1ELin1ELin1ELin1ELin1ELin1EEEvN5torch10headeronly6detail27GenericPackedTensorAccessorINS7_14TensorAccessorINS3_8ArrayRefIlEEKT_Lm4ENS6_16DefaultPtrTraitsEiEENS_6detail16IndexBoundsCheckILm5EiEESD_Lm5ESE_iEENS8_INS9_ISB_SC_Lm4ESE_iEESI_SC_Lm5ESE_iEESJ_iiiiiiiii.num_agpr, 0
	.set _ZN2at6native12_GLOBAL__N_143conv_depthwise3d_cuda_backward_input_kernelIN3c104HalfEfLin1ELin1ELin1ELin1ELin1ELin1ELin1ELin1ELin1EEEvN5torch10headeronly6detail27GenericPackedTensorAccessorINS7_14TensorAccessorINS3_8ArrayRefIlEEKT_Lm4ENS6_16DefaultPtrTraitsEiEENS_6detail16IndexBoundsCheckILm5EiEESD_Lm5ESE_iEENS8_INS9_ISB_SC_Lm4ESE_iEESI_SC_Lm5ESE_iEESJ_iiiiiiiii.numbered_sgpr, 83
	.set _ZN2at6native12_GLOBAL__N_143conv_depthwise3d_cuda_backward_input_kernelIN3c104HalfEfLin1ELin1ELin1ELin1ELin1ELin1ELin1ELin1ELin1EEEvN5torch10headeronly6detail27GenericPackedTensorAccessorINS7_14TensorAccessorINS3_8ArrayRefIlEEKT_Lm4ENS6_16DefaultPtrTraitsEiEENS_6detail16IndexBoundsCheckILm5EiEESD_Lm5ESE_iEENS8_INS9_ISB_SC_Lm4ESE_iEESI_SC_Lm5ESE_iEESJ_iiiiiiiii.num_named_barrier, 0
	.set _ZN2at6native12_GLOBAL__N_143conv_depthwise3d_cuda_backward_input_kernelIN3c104HalfEfLin1ELin1ELin1ELin1ELin1ELin1ELin1ELin1ELin1EEEvN5torch10headeronly6detail27GenericPackedTensorAccessorINS7_14TensorAccessorINS3_8ArrayRefIlEEKT_Lm4ENS6_16DefaultPtrTraitsEiEENS_6detail16IndexBoundsCheckILm5EiEESD_Lm5ESE_iEENS8_INS9_ISB_SC_Lm4ESE_iEESI_SC_Lm5ESE_iEESJ_iiiiiiiii.private_seg_size, 0
	.set _ZN2at6native12_GLOBAL__N_143conv_depthwise3d_cuda_backward_input_kernelIN3c104HalfEfLin1ELin1ELin1ELin1ELin1ELin1ELin1ELin1ELin1EEEvN5torch10headeronly6detail27GenericPackedTensorAccessorINS7_14TensorAccessorINS3_8ArrayRefIlEEKT_Lm4ENS6_16DefaultPtrTraitsEiEENS_6detail16IndexBoundsCheckILm5EiEESD_Lm5ESE_iEENS8_INS9_ISB_SC_Lm4ESE_iEESI_SC_Lm5ESE_iEESJ_iiiiiiiii.uses_vcc, 1
	.set _ZN2at6native12_GLOBAL__N_143conv_depthwise3d_cuda_backward_input_kernelIN3c104HalfEfLin1ELin1ELin1ELin1ELin1ELin1ELin1ELin1ELin1EEEvN5torch10headeronly6detail27GenericPackedTensorAccessorINS7_14TensorAccessorINS3_8ArrayRefIlEEKT_Lm4ENS6_16DefaultPtrTraitsEiEENS_6detail16IndexBoundsCheckILm5EiEESD_Lm5ESE_iEENS8_INS9_ISB_SC_Lm4ESE_iEESI_SC_Lm5ESE_iEESJ_iiiiiiiii.uses_flat_scratch, 0
	.set _ZN2at6native12_GLOBAL__N_143conv_depthwise3d_cuda_backward_input_kernelIN3c104HalfEfLin1ELin1ELin1ELin1ELin1ELin1ELin1ELin1ELin1EEEvN5torch10headeronly6detail27GenericPackedTensorAccessorINS7_14TensorAccessorINS3_8ArrayRefIlEEKT_Lm4ENS6_16DefaultPtrTraitsEiEENS_6detail16IndexBoundsCheckILm5EiEESD_Lm5ESE_iEENS8_INS9_ISB_SC_Lm4ESE_iEESI_SC_Lm5ESE_iEESJ_iiiiiiiii.has_dyn_sized_stack, 0
	.set _ZN2at6native12_GLOBAL__N_143conv_depthwise3d_cuda_backward_input_kernelIN3c104HalfEfLin1ELin1ELin1ELin1ELin1ELin1ELin1ELin1ELin1EEEvN5torch10headeronly6detail27GenericPackedTensorAccessorINS7_14TensorAccessorINS3_8ArrayRefIlEEKT_Lm4ENS6_16DefaultPtrTraitsEiEENS_6detail16IndexBoundsCheckILm5EiEESD_Lm5ESE_iEENS8_INS9_ISB_SC_Lm4ESE_iEESI_SC_Lm5ESE_iEESJ_iiiiiiiii.has_recursion, 0
	.set _ZN2at6native12_GLOBAL__N_143conv_depthwise3d_cuda_backward_input_kernelIN3c104HalfEfLin1ELin1ELin1ELin1ELin1ELin1ELin1ELin1ELin1EEEvN5torch10headeronly6detail27GenericPackedTensorAccessorINS7_14TensorAccessorINS3_8ArrayRefIlEEKT_Lm4ENS6_16DefaultPtrTraitsEiEENS_6detail16IndexBoundsCheckILm5EiEESD_Lm5ESE_iEENS8_INS9_ISB_SC_Lm4ESE_iEESI_SC_Lm5ESE_iEESJ_iiiiiiiii.has_indirect_call, 0
	.section	.AMDGPU.csdata,"",@progbits
; Kernel info:
; codeLenInByte = 2300
; TotalNumSgprs: 85
; NumVgprs: 28
; ScratchSize: 0
; MemoryBound: 0
; FloatMode: 240
; IeeeMode: 1
; LDSByteSize: 0 bytes/workgroup (compile time only)
; SGPRBlocks: 0
; VGPRBlocks: 1
; NumSGPRsForWavesPerEU: 85
; NumVGPRsForWavesPerEU: 28
; NamedBarCnt: 0
; Occupancy: 16
; WaveLimiterHint : 0
; COMPUTE_PGM_RSRC2:SCRATCH_EN: 0
; COMPUTE_PGM_RSRC2:USER_SGPR: 2
; COMPUTE_PGM_RSRC2:TRAP_HANDLER: 0
; COMPUTE_PGM_RSRC2:TGID_X_EN: 1
; COMPUTE_PGM_RSRC2:TGID_Y_EN: 0
; COMPUTE_PGM_RSRC2:TGID_Z_EN: 0
; COMPUTE_PGM_RSRC2:TIDIG_COMP_CNT: 0
	.section	.text._ZN2at6native12_GLOBAL__N_143conv_depthwise3d_cuda_backward_input_kernelIN3c108BFloat16EfLi3ELi3ELi3ELi1ELi1ELi1ELi1ELi1ELi1EEEvN5torch10headeronly6detail27GenericPackedTensorAccessorINS7_14TensorAccessorINS3_8ArrayRefIlEEKT_Lm4ENS6_16DefaultPtrTraitsEiEENS_6detail16IndexBoundsCheckILm5EiEESD_Lm5ESE_iEENS8_INS9_ISB_SC_Lm4ESE_iEESI_SC_Lm5ESE_iEESJ_iiiiiiiii,"axG",@progbits,_ZN2at6native12_GLOBAL__N_143conv_depthwise3d_cuda_backward_input_kernelIN3c108BFloat16EfLi3ELi3ELi3ELi1ELi1ELi1ELi1ELi1ELi1EEEvN5torch10headeronly6detail27GenericPackedTensorAccessorINS7_14TensorAccessorINS3_8ArrayRefIlEEKT_Lm4ENS6_16DefaultPtrTraitsEiEENS_6detail16IndexBoundsCheckILm5EiEESD_Lm5ESE_iEENS8_INS9_ISB_SC_Lm4ESE_iEESI_SC_Lm5ESE_iEESJ_iiiiiiiii,comdat
	.globl	_ZN2at6native12_GLOBAL__N_143conv_depthwise3d_cuda_backward_input_kernelIN3c108BFloat16EfLi3ELi3ELi3ELi1ELi1ELi1ELi1ELi1ELi1EEEvN5torch10headeronly6detail27GenericPackedTensorAccessorINS7_14TensorAccessorINS3_8ArrayRefIlEEKT_Lm4ENS6_16DefaultPtrTraitsEiEENS_6detail16IndexBoundsCheckILm5EiEESD_Lm5ESE_iEENS8_INS9_ISB_SC_Lm4ESE_iEESI_SC_Lm5ESE_iEESJ_iiiiiiiii ; -- Begin function _ZN2at6native12_GLOBAL__N_143conv_depthwise3d_cuda_backward_input_kernelIN3c108BFloat16EfLi3ELi3ELi3ELi1ELi1ELi1ELi1ELi1ELi1EEEvN5torch10headeronly6detail27GenericPackedTensorAccessorINS7_14TensorAccessorINS3_8ArrayRefIlEEKT_Lm4ENS6_16DefaultPtrTraitsEiEENS_6detail16IndexBoundsCheckILm5EiEESD_Lm5ESE_iEENS8_INS9_ISB_SC_Lm4ESE_iEESI_SC_Lm5ESE_iEESJ_iiiiiiiii
	.p2align	8
	.type	_ZN2at6native12_GLOBAL__N_143conv_depthwise3d_cuda_backward_input_kernelIN3c108BFloat16EfLi3ELi3ELi3ELi1ELi1ELi1ELi1ELi1ELi1EEEvN5torch10headeronly6detail27GenericPackedTensorAccessorINS7_14TensorAccessorINS3_8ArrayRefIlEEKT_Lm4ENS6_16DefaultPtrTraitsEiEENS_6detail16IndexBoundsCheckILm5EiEESD_Lm5ESE_iEENS8_INS9_ISB_SC_Lm4ESE_iEESI_SC_Lm5ESE_iEESJ_iiiiiiiii,@function
_ZN2at6native12_GLOBAL__N_143conv_depthwise3d_cuda_backward_input_kernelIN3c108BFloat16EfLi3ELi3ELi3ELi1ELi1ELi1ELi1ELi1ELi1EEEvN5torch10headeronly6detail27GenericPackedTensorAccessorINS7_14TensorAccessorINS3_8ArrayRefIlEEKT_Lm4ENS6_16DefaultPtrTraitsEiEENS_6detail16IndexBoundsCheckILm5EiEESD_Lm5ESE_iEENS8_INS9_ISB_SC_Lm4ESE_iEESI_SC_Lm5ESE_iEESJ_iiiiiiiii: ; @_ZN2at6native12_GLOBAL__N_143conv_depthwise3d_cuda_backward_input_kernelIN3c108BFloat16EfLi3ELi3ELi3ELi1ELi1ELi1ELi1ELi1ELi1EEEvN5torch10headeronly6detail27GenericPackedTensorAccessorINS7_14TensorAccessorINS3_8ArrayRefIlEEKT_Lm4ENS6_16DefaultPtrTraitsEiEENS_6detail16IndexBoundsCheckILm5EiEESD_Lm5ESE_iEENS8_INS9_ISB_SC_Lm4ESE_iEESI_SC_Lm5ESE_iEESJ_iiiiiiiii
; %bb.0:
	s_clause 0x1
	s_load_b128 s[4:7], s[0:1], 0x38
	s_load_b32 s2, s[0:1], 0xc4
	s_bfe_u32 s3, ttmp6, 0x4000c
	s_load_b64 s[20:21], s[0:1], 0x48
	s_add_co_i32 s3, s3, 1
	s_and_b32 s8, ttmp6, 15
	s_mul_i32 s3, ttmp9, s3
	s_getreg_b32 s9, hwreg(HW_REG_IB_STS2, 6, 4)
	v_mov_b32_e32 v1, 0
	s_add_co_i32 s8, s8, s3
	s_mov_b32 s25, 0
	s_wait_kmcnt 0x0
	s_abs_i32 s19, s5
	s_and_b32 s2, s2, 0xffff
	s_cmp_eq_u32 s9, 0
	s_mul_i32 s22, s21, s4
	s_cselect_b32 s3, ttmp9, s8
	s_ashr_i32 s23, s22, 31
	v_mad_nc_u64_u32 v[2:3], s2, s3, v[0:1]
	s_cvt_f32_u32 s3, s19
	s_mov_b32 s4, exec_lo
	s_delay_alu instid0(SALU_CYCLE_2) | instskip(SKIP_1) | instid1(TRANS32_DEP_1)
	v_rcp_iflag_f32_e32 v0, s3
	v_nop
	v_readfirstlane_b32 s3, v0
	s_delay_alu instid0(VALU_DEP_3)
	v_cmpx_gt_i64_e64 s[22:23], v[2:3]
	s_cbranch_execz .LBB27_62
; %bb.1:
	s_clause 0x1
	s_load_b128 s[8:11], s[0:1], 0xc
	s_load_b64 s[26:27], s[0:1], 0x0
	s_mul_f32 s3, s3, 0x4f7ffffe
	s_sub_co_i32 s4, 0, s19
	s_mov_b32 s13, s25
	s_ashr_i32 s33, s5, 31
	s_cvt_u32_f32 s3, s3
	s_add_nc_u64 s[36:37], s[0:1], 0xb8
	s_clause 0x3
	s_load_b96 s[16:18], s[0:1], 0x9c
	s_load_b32 s44, s[0:1], 0x7c
	s_load_b64 s[28:29], s[0:1], 0x1c
	s_load_b64 s[30:31], s[0:1], 0x30
	s_mul_i32 s12, s4, s3
	s_mov_b32 s41, s25
	s_mul_hi_u32 s12, s3, s12
	s_mov_b32 s43, s25
	s_add_co_i32 s12, s3, s12
	s_mov_b32 s53, s25
	s_wait_kmcnt 0x0
	s_abs_i32 s24, s8
	s_ashr_i32 s3, s8, 31
	s_mul_u64 s[38:39], s[24:25], s[12:13]
	s_xor_b32 s3, s3, s33
	s_mul_i32 s8, s39, s19
	s_clause 0x1
	s_load_b64 s[34:35], s[0:1], 0x60
	s_load_b128 s[12:15], s[0:1], 0x50
	s_sub_co_i32 s8, s24, s8
	s_add_co_i32 s24, s39, 1
	s_sub_co_i32 s38, s8, s19
	s_cmp_ge_u32 s8, s19
	s_wait_xcnt 0x0
	s_cselect_b32 s0, s24, s39
	s_cselect_b32 s1, s38, s8
	s_add_co_i32 s8, s0, 1
	s_cmp_ge_u32 s1, s19
	s_load_b32 s1, s[36:37], 0x0
	s_cselect_b32 s0, s8, s0
	v_readfirstlane_b32 s24, v0
	s_xor_b32 s0, s0, s3
	s_wait_xcnt 0x0
	s_mov_b32 s37, s25
	s_sub_co_i32 s8, s0, s3
	s_mov_b32 s39, s25
	s_cmp_gt_i32 s8, 0
	s_mul_f32 s0, s24, 0x4f7ffffe
	s_cselect_b32 s45, -1, 0
	s_abs_i32 s46, s20
	s_abs_i32 s47, s7
	;; [unrolled: 1-line block ×3, first 2 shown]
	s_cvt_f32_u32 s3, s46
	s_cvt_f32_u32 s24, s47
	;; [unrolled: 1-line block ×3, first 2 shown]
	s_cvt_u32_f32 s0, s0
	v_rcp_iflag_f32_e32 v0, s3
	v_rcp_iflag_f32_e32 v4, s24
	;; [unrolled: 1-line block ×3, first 2 shown]
	s_wait_kmcnt 0x0
	s_mul_i32 s24, s1, s2
	s_sub_co_i32 s36, 0, s46
	s_sub_co_i32 s38, 0, s47
	;; [unrolled: 1-line block ×3, first 2 shown]
	v_readfirstlane_b32 s1, v0
	v_readfirstlane_b32 s2, v4
	;; [unrolled: 1-line block ×3, first 2 shown]
	s_mul_i32 s4, s4, s0
	s_ashr_i32 s49, s20, 31
	s_mul_f32 s1, s1, 0x4f7ffffe
	s_mul_f32 s2, s2, 0x4f7ffffe
	;; [unrolled: 1-line block ×3, first 2 shown]
	s_ashr_i32 s50, s7, 31
	s_cvt_u32_f32 s1, s1
	s_cvt_u32_f32 s2, s2
	;; [unrolled: 1-line block ×3, first 2 shown]
	s_ashr_i32 s51, s6, 31
	s_mul_i32 s36, s36, s1
	s_mul_i32 s38, s38, s2
	;; [unrolled: 1-line block ×3, first 2 shown]
	s_mul_hi_u32 s36, s1, s36
	s_mul_hi_u32 s38, s2, s38
	;; [unrolled: 1-line block ×3, first 2 shown]
	s_add_co_i32 s36, s1, s36
	s_mul_hi_u32 s1, s0, s4
	s_add_co_i32 s38, s2, s38
	s_add_co_i32 s40, s3, s40
	;; [unrolled: 1-line block ×3, first 2 shown]
	s_mul_i32 s52, s29, s8
	s_branch .LBB27_4
.LBB27_2:                               ;   in Loop: Header=BB27_4 Depth=1
	s_or_b32 exec_lo, exec_lo, s0
.LBB27_3:                               ;   in Loop: Header=BB27_4 Depth=1
	v_mul_lo_u32 v4, v68, s21
	v_mul_lo_u32 v6, s12, v69
	;; [unrolled: 1-line block ×5, first 2 shown]
	v_bfe_u32 v11, v71, 16, 1
	v_add_nc_u64_e32 v[2:3], s[24:25], v[2:3]
	v_cmp_o_f32_e64 s0, v71, v71
	s_delay_alu instid0(VALU_DEP_3) | instskip(SKIP_2) | instid1(VALU_DEP_3)
	v_add3_u32 v0, v71, v11, 0x7fff
	v_dual_ashrrev_i32 v5, 31, v4 :: v_dual_ashrrev_i32 v7, 31, v6
	v_dual_ashrrev_i32 v9, 31, v8 :: v_dual_ashrrev_i32 v11, 31, v10
	v_lshrrev_b32_e32 v0, 16, v0
	s_delay_alu instid0(VALU_DEP_3) | instskip(SKIP_2) | instid1(VALU_DEP_4)
	v_lshl_add_u64 v[4:5], v[4:5], 1, s[30:31]
	v_ashrrev_i32_e32 v13, 31, v12
	v_cmp_le_i64_e32 vcc_lo, s[22:23], v[2:3]
	v_cndmask_b32_e64 v0, 0x7fc0, v0, s0
	s_delay_alu instid0(VALU_DEP_4) | instskip(SKIP_1) | instid1(VALU_DEP_1)
	v_lshl_add_u64 v[4:5], v[6:7], 1, v[4:5]
	s_or_b32 s53, vcc_lo, s53
	v_lshl_add_u64 v[4:5], v[8:9], 1, v[4:5]
	s_delay_alu instid0(VALU_DEP_1) | instskip(NEXT) | instid1(VALU_DEP_1)
	v_lshl_add_u64 v[4:5], v[10:11], 1, v[4:5]
	v_lshl_add_u64 v[4:5], v[12:13], 1, v[4:5]
	global_store_b16 v[4:5], v0, off
	s_wait_xcnt 0x0
	s_and_not1_b32 exec_lo, exec_lo, s53
	s_cbranch_execz .LBB27_62
.LBB27_4:                               ; =>This Loop Header: Depth=1
                                        ;     Child Loop BB27_7 Depth 2
	v_sub_nc_u32_e32 v0, 0, v2
	s_delay_alu instid0(VALU_DEP_1) | instskip(NEXT) | instid1(VALU_DEP_1)
	v_max_i32_e32 v0, v2, v0
	v_mul_u64_e32 v[4:5], s[36:37], v[0:1]
	s_delay_alu instid0(VALU_DEP_1) | instskip(NEXT) | instid1(VALU_DEP_1)
	v_mul_lo_u32 v4, v5, s46
	v_dual_sub_nc_u32 v0, v0, v4 :: v_dual_add_nc_u32 v4, 1, v5
	s_delay_alu instid0(VALU_DEP_1) | instskip(NEXT) | instid1(VALU_DEP_2)
	v_cmp_le_u32_e32 vcc_lo, s46, v0
	v_cndmask_b32_e32 v4, v5, v4, vcc_lo
	v_subrev_nc_u32_e32 v6, s46, v0
	v_ashrrev_i32_e32 v5, 31, v2
	s_delay_alu instid0(VALU_DEP_2) | instskip(NEXT) | instid1(VALU_DEP_1)
	v_dual_cndmask_b32 v0, v0, v6, vcc_lo :: v_dual_add_nc_u32 v6, 1, v4
	v_cmp_le_u32_e32 vcc_lo, s46, v0
	s_delay_alu instid0(VALU_DEP_2) | instskip(NEXT) | instid1(VALU_DEP_1)
	v_dual_cndmask_b32 v0, v4, v6, vcc_lo :: v_dual_bitop2_b32 v5, s49, v5 bitop3:0x14
	v_xor_b32_e32 v0, v0, v5
	s_delay_alu instid0(VALU_DEP_1) | instskip(NEXT) | instid1(VALU_DEP_1)
	v_sub_nc_u32_e32 v6, v0, v5
	v_sub_nc_u32_e32 v0, 0, v6
	s_delay_alu instid0(VALU_DEP_1) | instskip(NEXT) | instid1(VALU_DEP_1)
	v_max_i32_e32 v0, v6, v0
	v_mul_u64_e32 v[4:5], s[38:39], v[0:1]
	s_delay_alu instid0(VALU_DEP_1) | instskip(NEXT) | instid1(VALU_DEP_1)
	v_mul_lo_u32 v4, v5, s47
	v_dual_sub_nc_u32 v0, v0, v4 :: v_dual_add_nc_u32 v4, 1, v5
	s_delay_alu instid0(VALU_DEP_1) | instskip(SKIP_1) | instid1(VALU_DEP_2)
	v_subrev_nc_u32_e32 v7, s47, v0
	v_cmp_le_u32_e32 vcc_lo, s47, v0
	v_dual_cndmask_b32 v4, v5, v4, vcc_lo :: v_dual_cndmask_b32 v0, v0, v7, vcc_lo
	s_delay_alu instid0(VALU_DEP_1) | instskip(NEXT) | instid1(VALU_DEP_2)
	v_dual_ashrrev_i32 v5, 31, v6 :: v_dual_add_nc_u32 v7, 1, v4
	v_cmp_le_u32_e32 vcc_lo, s47, v0
	s_delay_alu instid0(VALU_DEP_2) | instskip(NEXT) | instid1(VALU_DEP_1)
	v_dual_cndmask_b32 v0, v4, v7, vcc_lo :: v_dual_bitop2_b32 v5, s50, v5 bitop3:0x14
	v_xor_b32_e32 v0, v0, v5
	s_delay_alu instid0(VALU_DEP_1) | instskip(NEXT) | instid1(VALU_DEP_1)
	v_sub_nc_u32_e32 v7, v0, v5
	v_sub_nc_u32_e32 v0, 0, v7
	s_delay_alu instid0(VALU_DEP_1) | instskip(NEXT) | instid1(VALU_DEP_1)
	v_max_i32_e32 v0, v7, v0
	v_mul_u64_e32 v[4:5], s[40:41], v[0:1]
	s_delay_alu instid0(VALU_DEP_1) | instskip(NEXT) | instid1(VALU_DEP_1)
	v_mul_lo_u32 v4, v5, s48
	v_dual_sub_nc_u32 v0, v0, v4 :: v_dual_add_nc_u32 v4, 1, v5
	s_delay_alu instid0(VALU_DEP_1) | instskip(SKIP_1) | instid1(VALU_DEP_3)
	v_subrev_nc_u32_e32 v8, s48, v0
	v_cmp_le_u32_e32 vcc_lo, s48, v0
	v_dual_cndmask_b32 v4, v5, v4 :: v_dual_ashrrev_i32 v5, 31, v7
	s_delay_alu instid0(VALU_DEP_1) | instskip(NEXT) | instid1(VALU_DEP_2)
	v_dual_cndmask_b32 v0, v0, v8, vcc_lo :: v_dual_bitop2_b32 v5, s51, v5 bitop3:0x14
	v_add_nc_u32_e32 v8, 1, v4
	s_delay_alu instid0(VALU_DEP_2) | instskip(NEXT) | instid1(VALU_DEP_2)
	v_cmp_le_u32_e32 vcc_lo, s48, v0
	v_cndmask_b32_e32 v0, v4, v8, vcc_lo
	s_delay_alu instid0(VALU_DEP_1) | instskip(NEXT) | instid1(VALU_DEP_1)
	v_xor_b32_e32 v0, v0, v5
	v_sub_nc_u32_e32 v8, v0, v5
	s_delay_alu instid0(VALU_DEP_1) | instskip(NEXT) | instid1(VALU_DEP_1)
	v_sub_nc_u32_e32 v0, 0, v8
	v_max_i32_e32 v0, v8, v0
	s_delay_alu instid0(VALU_DEP_1) | instskip(NEXT) | instid1(VALU_DEP_1)
	v_mul_u64_e32 v[4:5], s[42:43], v[0:1]
	v_mul_lo_u32 v4, v5, s19
	s_delay_alu instid0(VALU_DEP_1) | instskip(NEXT) | instid1(VALU_DEP_1)
	v_dual_sub_nc_u32 v0, v0, v4 :: v_dual_add_nc_u32 v4, 1, v5
	v_subrev_nc_u32_e32 v9, s19, v0
	v_cmp_le_u32_e32 vcc_lo, s19, v0
	s_delay_alu instid0(VALU_DEP_2) | instskip(SKIP_1) | instid1(VALU_DEP_2)
	v_dual_cndmask_b32 v4, v5, v4, vcc_lo :: v_dual_cndmask_b32 v0, v0, v9, vcc_lo
	v_ashrrev_i32_e32 v5, 31, v8
	v_add_nc_u32_e32 v9, 1, v4
	s_delay_alu instid0(VALU_DEP_3) | instskip(NEXT) | instid1(VALU_DEP_3)
	v_cmp_le_u32_e32 vcc_lo, s19, v0
	v_xor_b32_e32 v5, s33, v5
	s_delay_alu instid0(VALU_DEP_3) | instskip(SKIP_2) | instid1(VALU_DEP_1)
	v_cndmask_b32_e32 v0, v4, v9, vcc_lo
	v_mul_lo_u32 v4, v7, s7
	s_and_not1_b32 vcc_lo, exec_lo, s45
	v_dual_sub_nc_u32 v66, v6, v4 :: v_dual_bitop2_b32 v0, v0, v5 bitop3:0x14
	s_delay_alu instid0(VALU_DEP_1) | instskip(SKIP_2) | instid1(VALU_DEP_2)
	v_sub_nc_u32_e32 v68, v0, v5
	v_mul_lo_u32 v0, v6, s20
	v_mul_lo_u32 v5, v8, s6
	v_sub_nc_u32_e32 v0, v2, v0
	s_delay_alu instid0(VALU_DEP_4) | instskip(NEXT) | instid1(VALU_DEP_3)
	v_mul_lo_u32 v9, v68, s5
	v_sub_nc_u32_e32 v67, v7, v5
	s_delay_alu instid0(VALU_DEP_2)
	v_sub_nc_u32_e32 v69, v8, v9
	s_cbranch_vccnz .LBB27_61
; %bb.5:                                ;   in Loop: Header=BB27_4 Depth=1
	s_delay_alu instid0(VALU_DEP_2) | instskip(SKIP_1) | instid1(VALU_DEP_3)
	v_dual_add_nc_u32 v23, s16, v67 :: v_dual_add_nc_u32 v40, s17, v66
	v_add_nc_u32_e32 v55, s18, v0
	v_mul_lo_u32 v70, v69, s8
	v_mul_lo_u32 v6, s28, v68
	s_delay_alu instid0(VALU_DEP_4) | instskip(SKIP_3) | instid1(VALU_DEP_3)
	v_mul_lo_u32 v22, v23, s10
	v_dual_add_nc_u32 v48, -2, v40 :: v_dual_add_nc_u32 v44, -1, v40
	v_add_nc_u32_e32 v41, -2, v23
	v_dual_add_nc_u32 v58, -1, v55 :: v_dual_bitop2_b32 v4, v55, v40 bitop3:0x54
	v_dual_add_nc_u32 v25, -1, v23 :: v_dual_bitop2_b32 v21, v55, v48 bitop3:0x54
	s_delay_alu instid0(VALU_DEP_2) | instskip(SKIP_4) | instid1(VALU_DEP_3)
	v_dual_add_nc_u32 v59, -2, v55 :: v_dual_bitop2_b32 v26, v58, v48 bitop3:0x54
	v_dual_add_nc_u32 v16, v44, v22 :: v_dual_bitop2_b32 v11, v58, v40 bitop3:0x54
	v_dual_add_nc_u32 v5, v40, v22 :: v_dual_bitop2_b32 v15, v55, v44 bitop3:0x54
	v_dual_ashrrev_i32 v7, 31, v6 :: v_dual_bitop2_b32 v42, v4, v41 bitop3:0x54
	v_mul_lo_u32 v8, s44, v70
	v_mul_lo_u32 v12, v5, s11
	v_or_b32_e32 v24, v4, v25
	v_or_b32_e32 v4, v4, v23
	v_mul_lo_u32 v19, v16, s11
	v_or_b32_e32 v13, v59, v40
	v_cmp_gt_i32_e64 s0, s10, v40
	v_cmp_gt_i32_e64 s1, s11, v55
	v_cmp_lt_i32_e64 s3, -1, v4
	v_cmp_gt_i32_e32 vcc_lo, s9, v23
	v_cmp_gt_i32_e64 s2, s11, v58
	v_dual_add_nc_u32 v4, v55, v12 :: v_dual_bitop2_b32 v14, v13, v23 bitop3:0x54
	v_or_b32_e32 v10, v11, v23
	s_and_b32 s72, s1, s0
	s_and_b32 s73, s2, s0
	;; [unrolled: 1-line block ×3, first 2 shown]
	v_ashrrev_i32_e32 v5, 31, v4
	s_and_b32 s54, s3, vcc_lo
	v_cmp_lt_i32_e64 s3, -1, v10
	v_dual_add_nc_u32 v31, v48, v22 :: v_dual_bitop2_b32 v28, v59, v48 bitop3:0x54
	v_cmp_lt_i32_e64 s4, -1, v14
	v_or_b32_e32 v14, v15, v23
	s_and_b32 s3, s73, s3
	v_add_nc_u32_e32 v10, v58, v12
	s_and_b32 s55, s3, vcc_lo
	v_cmp_gt_i32_e64 s3, s11, v59
	v_or_b32_e32 v17, v58, v44
	v_mul_lo_u32 v31, v31, s11
	v_add_nc_u32_e32 v12, v59, v12
	v_or_b32_e32 v43, v11, v41
	s_and_b32 s74, s3, s0
	v_cmp_gt_i32_e64 s0, s10, v44
	s_and_b32 s4, s74, s4
	v_or_b32_e32 v18, v59, v44
	s_and_b32 s56, s4, vcc_lo
	v_cmp_lt_i32_e64 s4, -1, v14
	v_add_nc_u32_e32 v14, v55, v19
	v_dual_ashrrev_i32 v11, 31, v10 :: v_dual_bitop2_b32 v27, v11, v25 bitop3:0x54
	v_or_b32_e32 v16, v17, v23
	s_and_b32 s75, s1, s0
	v_subrev_nc_u32_e32 v37, s10, v22
	s_and_b32 s4, s75, s4
	v_add_nc_u32_e32 v22, v58, v31
	s_and_b32 s57, s4, vcc_lo
	v_cmp_lt_i32_e64 s4, -1, v16
	v_dual_add_nc_u32 v35, v40, v37 :: v_dual_bitop2_b32 v20, v18, v23 bitop3:0x54
	s_and_b32 s76, s2, s0
	s_and_b32 s78, s3, s0
	v_cmp_gt_i32_e64 s0, s10, v48
	s_and_b32 s4, s76, s4
	v_ashrrev_i32_e32 v9, 31, v8
	s_and_b32 s58, s4, vcc_lo
	v_cmp_lt_i32_e64 s4, -1, v20
	v_or_b32_e32 v49, v18, v41
	s_and_b32 s79, s1, s0
	s_and_b32 s77, s2, s0
	;; [unrolled: 1-line block ×3, first 2 shown]
	v_cmp_lt_i32_e64 s0, -1, v24
	v_add_nc_u32_e32 v24, v59, v31
	v_or_b32_e32 v20, v21, v23
	s_and_b32 s4, s78, s4
	v_or_b32_e32 v34, v26, v23
	s_and_b32 s59, s4, vcc_lo
	v_or_b32_e32 v32, v17, v25
	v_cmp_lt_i32_e64 s4, -1, v20
	v_dual_add_nc_u32 v20, v55, v31 :: v_dual_add_nc_u32 v31, v44, v37
	v_or_b32_e32 v46, v15, v41
	v_or_b32_e32 v30, v15, v25
	s_and_b32 s1, s79, s4
	v_or_b32_e32 v47, v17, v41
	s_and_b32 s60, s1, vcc_lo
	v_cmp_lt_i32_e64 s1, -1, v34
	v_dual_ashrrev_i32 v15, 31, v14 :: v_dual_bitop2_b32 v34, v28, v23 bitop3:0x54
	v_dual_add_nc_u32 v16, v58, v19 :: v_dual_bitop2_b32 v29, v13, v25 bitop3:0x54
	s_and_b32 s1, s77, s1
	s_and_b32 s0, s72, s0
	s_and_b32 s61, s1, vcc_lo
	v_cmp_lt_i32_e64 s1, -1, v34
	v_mul_lo_u32 v52, v31, s11
	v_mul_lo_u32 v34, v35, s11
	v_dual_add_nc_u32 v18, v59, v19 :: v_dual_bitop2_b32 v33, v18, v25 bitop3:0x54
	s_and_b32 s1, s80, s1
	v_ashrrev_i32_e32 v23, 31, v22
	s_and_b32 s62, s1, vcc_lo
	v_cmp_gt_i32_e32 vcc_lo, s9, v25
	v_cmp_lt_i32_e64 s1, -1, v27
	v_or_b32_e32 v53, v28, v41
	v_or_b32_e32 v51, v26, v41
	;; [unrolled: 1-line block ×3, first 2 shown]
	s_and_b32 s63, s0, vcc_lo
	s_and_b32 s0, s73, s1
	v_cmp_lt_i32_e64 s1, -1, v30
	s_and_b32 s64, s0, vcc_lo
	v_cmp_lt_i32_e64 s0, -1, v29
	v_dual_add_nc_u32 v30, v59, v34 :: v_dual_bitop2_b32 v38, v26, v25 bitop3:0x54
	v_dual_add_nc_u32 v26, v55, v34 :: v_dual_bitop2_b32 v39, v28, v25 bitop3:0x54
	s_and_b32 s0, s74, s0
	v_add_nc_u32_e32 v28, v58, v34
	s_and_b32 s65, s0, vcc_lo
	s_and_b32 s0, s75, s1
	v_cmp_lt_i32_e64 s1, -1, v33
	s_and_b32 s66, s0, vcc_lo
	v_cmp_lt_i32_e64 s0, -1, v32
	v_dual_add_nc_u32 v32, v55, v52 :: v_dual_add_nc_u32 v35, v48, v37
	v_dual_add_nc_u32 v34, v58, v52 :: v_dual_ashrrev_i32 v31, 31, v30
	s_and_b32 s0, s76, s0
	s_delay_alu instid0(VALU_DEP_2) | instskip(NEXT) | instid1(VALU_DEP_3)
	v_ashrrev_i32_e32 v33, 31, v32
	v_mul_lo_u32 v54, v35, s11
	s_and_b32 s67, s0, vcc_lo
	s_and_b32 s0, s78, s1
	v_ashrrev_i32_e32 v35, 31, v34
	s_and_b32 s68, s0, vcc_lo
	v_cmp_lt_i32_e64 s0, -1, v36
	v_add_nc_u32_e32 v36, v59, v52
	v_cmp_lt_i32_e64 s1, -1, v38
	v_subrev_nc_u32_e32 v52, s10, v37
	v_cmp_lt_i32_e64 s2, -1, v39
	s_and_b32 s0, s79, s0
	v_dual_add_nc_u32 v38, v55, v54 :: v_dual_ashrrev_i32 v37, 31, v36
	v_add_nc_u32_e32 v56, v40, v52
	s_and_b32 s69, s0, vcc_lo
	s_and_b32 s0, s77, s1
	s_delay_alu instid0(VALU_DEP_2)
	v_ashrrev_i32_e32 v39, 31, v38
	v_cmp_lt_i32_e64 s1, -1, v42
	v_mul_lo_u32 v56, v56, s11
	v_dual_ashrrev_i32 v17, 31, v16 :: v_dual_bitop2_b32 v45, v13, v41 bitop3:0x54
	s_and_b32 s70, s0, vcc_lo
	v_cmp_gt_i32_e64 s0, s9, v41
	s_and_b32 s2, s80, s2
	s_and_b32 s1, s72, s1
	v_dual_ashrrev_i32 v27, 31, v26 :: v_dual_bitop2_b32 v50, v21, v41 bitop3:0x54
	v_ashrrev_i32_e32 v21, 31, v20
	s_and_b32 s71, s2, vcc_lo
	s_and_b32 s72, s1, s0
	v_cmp_lt_i32_e32 vcc_lo, -1, v45
	v_cmp_lt_i32_e64 s1, -1, v46
	v_cmp_lt_i32_e64 s4, -1, v49
	v_add_nc_u32_e32 v46, v58, v56
	v_add_nc_u32_e32 v49, v48, v52
	;; [unrolled: 1-line block ×3, first 2 shown]
	v_dual_add_nc_u32 v45, v44, v52 :: v_dual_add_nc_u32 v40, v58, v54
	v_add_nc_u32_e32 v42, v59, v54
	v_cmp_lt_i32_e64 s2, -1, v47
	v_ashrrev_i32_e32 v47, 31, v46
	s_delay_alu instid0(VALU_DEP_4)
	v_mul_lo_u32 v54, v45, s11
	v_ashrrev_i32_e32 v13, 31, v12
	v_cmp_lt_i32_e64 s3, -1, v43
	s_and_b32 s1, s75, s1
	v_mul_lo_u32 v62, s52, v69
	s_and_b32 s75, s1, s0
	s_and_b32 s1, s76, s2
	;; [unrolled: 1-line block ×3, first 2 shown]
	v_add_nc_u32_e32 v44, v55, v56
	s_and_b32 s73, s3, s0
	s_and_b32 s3, s74, vcc_lo
	v_add_nc_u32_e32 v52, v58, v54
	v_mul_lo_u32 v60, v49, s11
	v_cmp_lt_i32_e32 vcc_lo, -1, v50
	v_dual_add_nc_u32 v50, v55, v54 :: v_dual_ashrrev_i32 v49, 31, v48
	v_add_nc_u32_e32 v54, v59, v54
	s_and_b32 s74, s3, s0
	v_cmp_lt_i32_e64 s3, -1, v51
	s_and_b32 s2, s1, s0
	v_cmp_lt_i32_e64 s1, -1, v53
	v_lshl_add_u64 v[6:7], v[6:7], 1, s[26:27]
	v_lshl_add_u64 v[8:9], v[8:9], 1, s[34:35]
	v_dual_add_nc_u32 v56, v55, v60 :: v_dual_add_nc_u32 v58, v58, v60
	v_dual_add_nc_u32 v60, v59, v60 :: v_dual_add_nc_u32 v72, s8, v70
	v_dual_ashrrev_i32 v19, 31, v18 :: v_dual_ashrrev_i32 v25, 31, v24
	v_ashrrev_i32_e32 v29, 31, v28
	v_dual_ashrrev_i32 v41, 31, v40 :: v_dual_ashrrev_i32 v43, 31, v42
	v_dual_ashrrev_i32 v45, 31, v44 :: v_dual_ashrrev_i32 v51, 31, v50
	;; [unrolled: 1-line block ×4, first 2 shown]
	v_dual_ashrrev_i32 v61, 31, v60 :: v_dual_mov_b32 v71, 0
	s_and_b32 s4, s78, s4
	s_and_b32 s76, s79, vcc_lo
	s_and_b32 s3, s77, s3
	s_and_b32 s77, s80, s1
	;; [unrolled: 1-line block ×6, first 2 shown]
	s_mov_b32 s0, 0
	s_branch .LBB27_7
.LBB27_6:                               ;   in Loop: Header=BB27_7 Depth=2
	s_wait_xcnt 0x0
	s_or_b32 exec_lo, exec_lo, s77
	s_wait_loadcnt 0x19
	v_dual_lshlrev_b32 v64, 16, v73 :: v_dual_lshlrev_b32 v65, 16, v75
	v_add_nc_u64_e32 v[8:9], 54, v[8:9]
	v_add_nc_u32_e32 v70, 1, v70
	s_delay_alu instid0(VALU_DEP_3) | instskip(SKIP_2) | instid1(VALU_DEP_3)
	v_dual_fmac_f32 v71, v63, v64 :: v_dual_add_nc_u32 v62, s29, v62
	s_wait_loadcnt 0x17
	v_dual_lshlrev_b32 v63, 16, v77 :: v_dual_lshlrev_b32 v64, 16, v79
	v_cmp_ge_i32_e32 vcc_lo, v70, v72
	s_delay_alu instid0(VALU_DEP_3) | instskip(SKIP_2) | instid1(VALU_DEP_1)
	v_fmac_f32_e32 v71, v76, v65
	s_or_b32 s0, vcc_lo, s0
	s_wait_loadcnt 0x16
	v_dual_fmac_f32 v71, v74, v63 :: v_dual_lshlrev_b32 v63, 16, v81
	s_wait_loadcnt 0x15
	s_delay_alu instid0(VALU_DEP_1) | instskip(SKIP_1) | instid1(VALU_DEP_1)
	v_dual_fmac_f32 v71, v80, v64 :: v_dual_lshlrev_b32 v64, 16, v83
	s_wait_loadcnt 0x14
	v_dual_fmac_f32 v71, v78, v63 :: v_dual_lshlrev_b32 v63, 16, v85
	s_wait_loadcnt 0x13
	s_delay_alu instid0(VALU_DEP_1) | instskip(SKIP_1) | instid1(VALU_DEP_1)
	v_dual_fmac_f32 v71, v84, v64 :: v_dual_lshlrev_b32 v64, 16, v87
	;; [unrolled: 5-line block ×10, first 2 shown]
	s_wait_loadcnt 0x2
	v_dual_fmac_f32 v71, v114, v63 :: v_dual_lshlrev_b32 v63, 16, v121
	s_delay_alu instid0(VALU_DEP_1) | instskip(SKIP_1) | instid1(VALU_DEP_1)
	v_fmac_f32_e32 v71, v120, v64
	s_wait_loadcnt 0x1
	v_dual_fmac_f32 v71, v118, v63 :: v_dual_lshlrev_b32 v64, 16, v124
	s_wait_loadcnt 0x0
	s_delay_alu instid0(VALU_DEP_1) | instskip(NEXT) | instid1(VALU_DEP_1)
	v_dual_lshlrev_b32 v63, 16, v125 :: v_dual_fmac_f32 v71, v123, v64
	v_fmac_f32_e32 v71, v122, v63
	s_and_not1_b32 exec_lo, exec_lo, s0
	s_cbranch_execz .LBB27_2
.LBB27_7:                               ;   Parent Loop BB27_4 Depth=1
                                        ; =>  This Inner Loop Header: Depth=2
	global_load_u16 v73, v[8:9], off
	v_ashrrev_i32_e32 v63, 31, v62
	s_delay_alu instid0(VALU_DEP_1)
	v_lshl_add_u64 v[64:65], v[62:63], 1, v[6:7]
	v_mov_b32_e32 v63, 0
	s_wait_xcnt 0x0
	s_and_saveexec_b32 s77, s54
	s_cbranch_execz .LBB27_9
; %bb.8:                                ;   in Loop: Header=BB27_7 Depth=2
	v_lshl_add_u64 v[74:75], v[4:5], 1, v[64:65]
	global_load_u16 v63, v[74:75], off
	s_wait_loadcnt 0x0
	v_lshlrev_b32_e32 v63, 16, v63
.LBB27_9:                               ;   in Loop: Header=BB27_7 Depth=2
	s_wait_xcnt 0x0
	s_or_b32 exec_lo, exec_lo, s77
	global_load_u16 v75, v[8:9], off offset:2
	v_dual_mov_b32 v74, 0 :: v_dual_mov_b32 v76, 0
	s_wait_xcnt 0x0
	s_and_saveexec_b32 s77, s55
	s_cbranch_execz .LBB27_11
; %bb.10:                               ;   in Loop: Header=BB27_7 Depth=2
	v_lshl_add_u64 v[76:77], v[10:11], 1, v[64:65]
	global_load_u16 v76, v[76:77], off
	s_wait_loadcnt 0x0
	s_wait_xcnt 0x0
	v_lshlrev_b32_e32 v76, 16, v76
.LBB27_11:                              ;   in Loop: Header=BB27_7 Depth=2
	s_or_b32 exec_lo, exec_lo, s77
	global_load_u16 v77, v[8:9], off offset:4
	s_wait_xcnt 0x0
	s_and_saveexec_b32 s77, s56
	s_cbranch_execz .LBB27_13
; %bb.12:                               ;   in Loop: Header=BB27_7 Depth=2
	v_lshl_add_u64 v[78:79], v[12:13], 1, v[64:65]
	global_load_u16 v74, v[78:79], off
	s_wait_loadcnt 0x0
	v_lshlrev_b32_e32 v74, 16, v74
.LBB27_13:                              ;   in Loop: Header=BB27_7 Depth=2
	s_wait_xcnt 0x0
	s_or_b32 exec_lo, exec_lo, s77
	global_load_u16 v79, v[8:9], off offset:6
	v_dual_mov_b32 v78, 0 :: v_dual_mov_b32 v80, 0
	s_wait_xcnt 0x0
	s_and_saveexec_b32 s77, s57
	s_cbranch_execz .LBB27_15
; %bb.14:                               ;   in Loop: Header=BB27_7 Depth=2
	v_lshl_add_u64 v[80:81], v[14:15], 1, v[64:65]
	global_load_u16 v80, v[80:81], off
	s_wait_loadcnt 0x0
	s_wait_xcnt 0x0
	v_lshlrev_b32_e32 v80, 16, v80
.LBB27_15:                              ;   in Loop: Header=BB27_7 Depth=2
	s_or_b32 exec_lo, exec_lo, s77
	global_load_u16 v81, v[8:9], off offset:8
	s_wait_xcnt 0x0
	s_and_saveexec_b32 s77, s58
	s_cbranch_execz .LBB27_17
; %bb.16:                               ;   in Loop: Header=BB27_7 Depth=2
	v_lshl_add_u64 v[82:83], v[16:17], 1, v[64:65]
	global_load_u16 v78, v[82:83], off
	s_wait_loadcnt 0x0
	v_lshlrev_b32_e32 v78, 16, v78
.LBB27_17:                              ;   in Loop: Header=BB27_7 Depth=2
	s_wait_xcnt 0x0
	s_or_b32 exec_lo, exec_lo, s77
	global_load_u16 v83, v[8:9], off offset:10
	v_dual_mov_b32 v82, 0 :: v_dual_mov_b32 v84, 0
	s_wait_xcnt 0x0
	s_and_saveexec_b32 s77, s59
	s_cbranch_execz .LBB27_19
; %bb.18:                               ;   in Loop: Header=BB27_7 Depth=2
	v_lshl_add_u64 v[84:85], v[18:19], 1, v[64:65]
	global_load_u16 v84, v[84:85], off
	s_wait_loadcnt 0x0
	s_wait_xcnt 0x0
	v_lshlrev_b32_e32 v84, 16, v84
.LBB27_19:                              ;   in Loop: Header=BB27_7 Depth=2
	s_or_b32 exec_lo, exec_lo, s77
	global_load_u16 v85, v[8:9], off offset:12
	s_wait_xcnt 0x0
	s_and_saveexec_b32 s77, s60
	s_cbranch_execz .LBB27_21
; %bb.20:                               ;   in Loop: Header=BB27_7 Depth=2
	v_lshl_add_u64 v[86:87], v[20:21], 1, v[64:65]
	global_load_u16 v82, v[86:87], off
	s_wait_loadcnt 0x0
	v_lshlrev_b32_e32 v82, 16, v82
.LBB27_21:                              ;   in Loop: Header=BB27_7 Depth=2
	s_wait_xcnt 0x0
	s_or_b32 exec_lo, exec_lo, s77
	global_load_u16 v87, v[8:9], off offset:14
	v_dual_mov_b32 v86, 0 :: v_dual_mov_b32 v88, 0
	s_wait_xcnt 0x0
	s_and_saveexec_b32 s77, s61
	s_cbranch_execz .LBB27_23
; %bb.22:                               ;   in Loop: Header=BB27_7 Depth=2
	v_lshl_add_u64 v[88:89], v[22:23], 1, v[64:65]
	global_load_u16 v88, v[88:89], off
	s_wait_loadcnt 0x0
	s_wait_xcnt 0x0
	v_lshlrev_b32_e32 v88, 16, v88
.LBB27_23:                              ;   in Loop: Header=BB27_7 Depth=2
	s_or_b32 exec_lo, exec_lo, s77
	global_load_u16 v89, v[8:9], off offset:16
	s_wait_xcnt 0x0
	s_and_saveexec_b32 s77, s62
	s_cbranch_execz .LBB27_25
; %bb.24:                               ;   in Loop: Header=BB27_7 Depth=2
	v_lshl_add_u64 v[90:91], v[24:25], 1, v[64:65]
	global_load_u16 v86, v[90:91], off
	s_wait_loadcnt 0x0
	v_lshlrev_b32_e32 v86, 16, v86
.LBB27_25:                              ;   in Loop: Header=BB27_7 Depth=2
	s_wait_xcnt 0x0
	s_or_b32 exec_lo, exec_lo, s77
	global_load_u16 v91, v[8:9], off offset:18
	v_dual_mov_b32 v90, 0 :: v_dual_mov_b32 v92, 0
	s_wait_xcnt 0x0
	s_and_saveexec_b32 s77, s63
	s_cbranch_execz .LBB27_27
; %bb.26:                               ;   in Loop: Header=BB27_7 Depth=2
	v_lshl_add_u64 v[92:93], v[26:27], 1, v[64:65]
	global_load_u16 v92, v[92:93], off
	s_wait_loadcnt 0x0
	s_wait_xcnt 0x0
	v_lshlrev_b32_e32 v92, 16, v92
.LBB27_27:                              ;   in Loop: Header=BB27_7 Depth=2
	s_or_b32 exec_lo, exec_lo, s77
	global_load_u16 v93, v[8:9], off offset:20
	s_wait_xcnt 0x0
	s_and_saveexec_b32 s77, s64
	s_cbranch_execz .LBB27_29
; %bb.28:                               ;   in Loop: Header=BB27_7 Depth=2
	v_lshl_add_u64 v[94:95], v[28:29], 1, v[64:65]
	global_load_u16 v90, v[94:95], off
	s_wait_loadcnt 0x0
	v_lshlrev_b32_e32 v90, 16, v90
.LBB27_29:                              ;   in Loop: Header=BB27_7 Depth=2
	s_wait_xcnt 0x0
	s_or_b32 exec_lo, exec_lo, s77
	global_load_u16 v95, v[8:9], off offset:22
	v_dual_mov_b32 v94, 0 :: v_dual_mov_b32 v96, 0
	s_wait_xcnt 0x0
	s_and_saveexec_b32 s77, s65
	s_cbranch_execz .LBB27_31
; %bb.30:                               ;   in Loop: Header=BB27_7 Depth=2
	v_lshl_add_u64 v[96:97], v[30:31], 1, v[64:65]
	global_load_u16 v96, v[96:97], off
	s_wait_loadcnt 0x0
	s_wait_xcnt 0x0
	v_lshlrev_b32_e32 v96, 16, v96
.LBB27_31:                              ;   in Loop: Header=BB27_7 Depth=2
	s_or_b32 exec_lo, exec_lo, s77
	global_load_u16 v97, v[8:9], off offset:24
	s_wait_xcnt 0x0
	s_and_saveexec_b32 s77, s66
	s_cbranch_execz .LBB27_33
; %bb.32:                               ;   in Loop: Header=BB27_7 Depth=2
	v_lshl_add_u64 v[98:99], v[32:33], 1, v[64:65]
	global_load_u16 v94, v[98:99], off
	s_wait_loadcnt 0x0
	v_lshlrev_b32_e32 v94, 16, v94
.LBB27_33:                              ;   in Loop: Header=BB27_7 Depth=2
	s_wait_xcnt 0x0
	s_or_b32 exec_lo, exec_lo, s77
	global_load_u16 v99, v[8:9], off offset:26
	v_dual_mov_b32 v98, 0 :: v_dual_mov_b32 v100, 0
	s_wait_xcnt 0x0
	s_and_saveexec_b32 s77, s67
	s_cbranch_execz .LBB27_35
; %bb.34:                               ;   in Loop: Header=BB27_7 Depth=2
	v_lshl_add_u64 v[100:101], v[34:35], 1, v[64:65]
	global_load_u16 v100, v[100:101], off
	s_wait_loadcnt 0x0
	s_wait_xcnt 0x0
	v_lshlrev_b32_e32 v100, 16, v100
.LBB27_35:                              ;   in Loop: Header=BB27_7 Depth=2
	s_or_b32 exec_lo, exec_lo, s77
	global_load_u16 v101, v[8:9], off offset:28
	s_wait_xcnt 0x0
	s_and_saveexec_b32 s77, s68
	s_cbranch_execz .LBB27_37
; %bb.36:                               ;   in Loop: Header=BB27_7 Depth=2
	v_lshl_add_u64 v[102:103], v[36:37], 1, v[64:65]
	global_load_u16 v98, v[102:103], off
	s_wait_loadcnt 0x0
	v_lshlrev_b32_e32 v98, 16, v98
.LBB27_37:                              ;   in Loop: Header=BB27_7 Depth=2
	s_wait_xcnt 0x0
	s_or_b32 exec_lo, exec_lo, s77
	global_load_u16 v103, v[8:9], off offset:30
	v_dual_mov_b32 v102, 0 :: v_dual_mov_b32 v104, 0
	s_wait_xcnt 0x0
	s_and_saveexec_b32 s77, s69
	s_cbranch_execz .LBB27_39
; %bb.38:                               ;   in Loop: Header=BB27_7 Depth=2
	v_lshl_add_u64 v[104:105], v[38:39], 1, v[64:65]
	global_load_u16 v104, v[104:105], off
	s_wait_loadcnt 0x0
	s_wait_xcnt 0x0
	v_lshlrev_b32_e32 v104, 16, v104
.LBB27_39:                              ;   in Loop: Header=BB27_7 Depth=2
	s_or_b32 exec_lo, exec_lo, s77
	global_load_u16 v105, v[8:9], off offset:32
	s_wait_xcnt 0x0
	s_and_saveexec_b32 s77, s70
	s_cbranch_execz .LBB27_41
; %bb.40:                               ;   in Loop: Header=BB27_7 Depth=2
	v_lshl_add_u64 v[106:107], v[40:41], 1, v[64:65]
	global_load_u16 v102, v[106:107], off
	s_wait_loadcnt 0x0
	v_lshlrev_b32_e32 v102, 16, v102
.LBB27_41:                              ;   in Loop: Header=BB27_7 Depth=2
	s_wait_xcnt 0x0
	s_or_b32 exec_lo, exec_lo, s77
	global_load_u16 v107, v[8:9], off offset:34
	v_dual_mov_b32 v106, 0 :: v_dual_mov_b32 v108, 0
	s_wait_xcnt 0x0
	s_and_saveexec_b32 s77, s71
	s_cbranch_execz .LBB27_43
; %bb.42:                               ;   in Loop: Header=BB27_7 Depth=2
	v_lshl_add_u64 v[108:109], v[42:43], 1, v[64:65]
	global_load_u16 v108, v[108:109], off
	s_wait_loadcnt 0x0
	s_wait_xcnt 0x0
	v_lshlrev_b32_e32 v108, 16, v108
.LBB27_43:                              ;   in Loop: Header=BB27_7 Depth=2
	s_or_b32 exec_lo, exec_lo, s77
	global_load_u16 v109, v[8:9], off offset:36
	s_wait_xcnt 0x0
	s_and_saveexec_b32 s77, s72
	s_cbranch_execz .LBB27_45
; %bb.44:                               ;   in Loop: Header=BB27_7 Depth=2
	v_lshl_add_u64 v[110:111], v[44:45], 1, v[64:65]
	global_load_u16 v106, v[110:111], off
	s_wait_loadcnt 0x0
	v_lshlrev_b32_e32 v106, 16, v106
.LBB27_45:                              ;   in Loop: Header=BB27_7 Depth=2
	s_wait_xcnt 0x0
	s_or_b32 exec_lo, exec_lo, s77
	global_load_u16 v111, v[8:9], off offset:38
	v_dual_mov_b32 v110, 0 :: v_dual_mov_b32 v112, 0
	s_wait_xcnt 0x0
	s_and_saveexec_b32 s77, s73
	s_cbranch_execz .LBB27_47
; %bb.46:                               ;   in Loop: Header=BB27_7 Depth=2
	v_lshl_add_u64 v[112:113], v[46:47], 1, v[64:65]
	global_load_u16 v112, v[112:113], off
	s_wait_loadcnt 0x0
	s_wait_xcnt 0x0
	v_lshlrev_b32_e32 v112, 16, v112
.LBB27_47:                              ;   in Loop: Header=BB27_7 Depth=2
	s_or_b32 exec_lo, exec_lo, s77
	global_load_u16 v113, v[8:9], off offset:40
	s_wait_xcnt 0x0
	s_and_saveexec_b32 s77, s74
	s_cbranch_execz .LBB27_49
; %bb.48:                               ;   in Loop: Header=BB27_7 Depth=2
	v_lshl_add_u64 v[114:115], v[48:49], 1, v[64:65]
	global_load_u16 v110, v[114:115], off
	s_wait_loadcnt 0x0
	v_lshlrev_b32_e32 v110, 16, v110
.LBB27_49:                              ;   in Loop: Header=BB27_7 Depth=2
	s_wait_xcnt 0x0
	s_or_b32 exec_lo, exec_lo, s77
	global_load_u16 v115, v[8:9], off offset:42
	v_dual_mov_b32 v114, 0 :: v_dual_mov_b32 v116, 0
	s_wait_xcnt 0x0
	s_and_saveexec_b32 s77, s75
	s_cbranch_execz .LBB27_51
; %bb.50:                               ;   in Loop: Header=BB27_7 Depth=2
	v_lshl_add_u64 v[116:117], v[50:51], 1, v[64:65]
	global_load_u16 v116, v[116:117], off
	s_wait_loadcnt 0x0
	s_wait_xcnt 0x0
	v_lshlrev_b32_e32 v116, 16, v116
.LBB27_51:                              ;   in Loop: Header=BB27_7 Depth=2
	s_or_b32 exec_lo, exec_lo, s77
	global_load_u16 v117, v[8:9], off offset:44
	s_wait_xcnt 0x0
	s_and_saveexec_b32 s77, s2
	s_cbranch_execz .LBB27_53
; %bb.52:                               ;   in Loop: Header=BB27_7 Depth=2
	v_lshl_add_u64 v[118:119], v[52:53], 1, v[64:65]
	global_load_u16 v114, v[118:119], off
	s_wait_loadcnt 0x0
	v_lshlrev_b32_e32 v114, 16, v114
.LBB27_53:                              ;   in Loop: Header=BB27_7 Depth=2
	s_wait_xcnt 0x0
	s_or_b32 exec_lo, exec_lo, s77
	global_load_u16 v119, v[8:9], off offset:46
	v_dual_mov_b32 v118, 0 :: v_dual_mov_b32 v120, 0
	s_wait_xcnt 0x0
	s_and_saveexec_b32 s77, s4
	s_cbranch_execz .LBB27_55
; %bb.54:                               ;   in Loop: Header=BB27_7 Depth=2
	v_lshl_add_u64 v[120:121], v[54:55], 1, v[64:65]
	global_load_u16 v120, v[120:121], off
	s_wait_loadcnt 0x0
	s_wait_xcnt 0x0
	v_lshlrev_b32_e32 v120, 16, v120
.LBB27_55:                              ;   in Loop: Header=BB27_7 Depth=2
	s_or_b32 exec_lo, exec_lo, s77
	global_load_u16 v121, v[8:9], off offset:48
	s_wait_xcnt 0x0
	s_and_saveexec_b32 s77, s76
	s_cbranch_execz .LBB27_57
; %bb.56:                               ;   in Loop: Header=BB27_7 Depth=2
	v_lshl_add_u64 v[122:123], v[56:57], 1, v[64:65]
	global_load_u16 v118, v[122:123], off
	s_wait_loadcnt 0x0
	v_lshlrev_b32_e32 v118, 16, v118
.LBB27_57:                              ;   in Loop: Header=BB27_7 Depth=2
	s_wait_xcnt 0x0
	s_or_b32 exec_lo, exec_lo, s77
	global_load_u16 v124, v[8:9], off offset:50
	v_dual_mov_b32 v122, 0 :: v_dual_mov_b32 v123, 0
	s_wait_xcnt 0x0
	s_and_saveexec_b32 s77, s1
	s_cbranch_execz .LBB27_59
; %bb.58:                               ;   in Loop: Header=BB27_7 Depth=2
	v_lshl_add_u64 v[126:127], v[58:59], 1, v[64:65]
	global_load_u16 v123, v[126:127], off
	s_wait_loadcnt 0x0
	v_lshlrev_b32_e32 v123, 16, v123
.LBB27_59:                              ;   in Loop: Header=BB27_7 Depth=2
	s_wait_xcnt 0x0
	s_or_b32 exec_lo, exec_lo, s77
	global_load_u16 v125, v[8:9], off offset:52
	s_wait_xcnt 0x0
	s_and_saveexec_b32 s77, s3
	s_cbranch_execz .LBB27_6
; %bb.60:                               ;   in Loop: Header=BB27_7 Depth=2
	v_lshl_add_u64 v[64:65], v[60:61], 1, v[64:65]
	global_load_u16 v64, v[64:65], off
	s_wait_loadcnt 0x0
	v_lshlrev_b32_e32 v122, 16, v64
	s_branch .LBB27_6
.LBB27_61:                              ;   in Loop: Header=BB27_4 Depth=1
	v_mov_b32_e32 v71, 0
	s_branch .LBB27_3
.LBB27_62:
	s_sendmsg sendmsg(MSG_DEALLOC_VGPRS)
	s_endpgm
	.section	.rodata,"a",@progbits
	.p2align	6, 0x0
	.amdhsa_kernel _ZN2at6native12_GLOBAL__N_143conv_depthwise3d_cuda_backward_input_kernelIN3c108BFloat16EfLi3ELi3ELi3ELi1ELi1ELi1ELi1ELi1ELi1EEEvN5torch10headeronly6detail27GenericPackedTensorAccessorINS7_14TensorAccessorINS3_8ArrayRefIlEEKT_Lm4ENS6_16DefaultPtrTraitsEiEENS_6detail16IndexBoundsCheckILm5EiEESD_Lm5ESE_iEENS8_INS9_ISB_SC_Lm4ESE_iEESI_SC_Lm5ESE_iEESJ_iiiiiiiii
		.amdhsa_group_segment_fixed_size 0
		.amdhsa_private_segment_fixed_size 0
		.amdhsa_kernarg_size 440
		.amdhsa_user_sgpr_count 2
		.amdhsa_user_sgpr_dispatch_ptr 0
		.amdhsa_user_sgpr_queue_ptr 0
		.amdhsa_user_sgpr_kernarg_segment_ptr 1
		.amdhsa_user_sgpr_dispatch_id 0
		.amdhsa_user_sgpr_kernarg_preload_length 0
		.amdhsa_user_sgpr_kernarg_preload_offset 0
		.amdhsa_user_sgpr_private_segment_size 0
		.amdhsa_wavefront_size32 1
		.amdhsa_uses_dynamic_stack 0
		.amdhsa_enable_private_segment 0
		.amdhsa_system_sgpr_workgroup_id_x 1
		.amdhsa_system_sgpr_workgroup_id_y 0
		.amdhsa_system_sgpr_workgroup_id_z 0
		.amdhsa_system_sgpr_workgroup_info 0
		.amdhsa_system_vgpr_workitem_id 0
		.amdhsa_next_free_vgpr 128
		.amdhsa_next_free_sgpr 81
		.amdhsa_named_barrier_count 0
		.amdhsa_reserve_vcc 1
		.amdhsa_float_round_mode_32 0
		.amdhsa_float_round_mode_16_64 0
		.amdhsa_float_denorm_mode_32 3
		.amdhsa_float_denorm_mode_16_64 3
		.amdhsa_fp16_overflow 0
		.amdhsa_memory_ordered 1
		.amdhsa_forward_progress 1
		.amdhsa_inst_pref_size 38
		.amdhsa_round_robin_scheduling 0
		.amdhsa_exception_fp_ieee_invalid_op 0
		.amdhsa_exception_fp_denorm_src 0
		.amdhsa_exception_fp_ieee_div_zero 0
		.amdhsa_exception_fp_ieee_overflow 0
		.amdhsa_exception_fp_ieee_underflow 0
		.amdhsa_exception_fp_ieee_inexact 0
		.amdhsa_exception_int_div_zero 0
	.end_amdhsa_kernel
	.section	.text._ZN2at6native12_GLOBAL__N_143conv_depthwise3d_cuda_backward_input_kernelIN3c108BFloat16EfLi3ELi3ELi3ELi1ELi1ELi1ELi1ELi1ELi1EEEvN5torch10headeronly6detail27GenericPackedTensorAccessorINS7_14TensorAccessorINS3_8ArrayRefIlEEKT_Lm4ENS6_16DefaultPtrTraitsEiEENS_6detail16IndexBoundsCheckILm5EiEESD_Lm5ESE_iEENS8_INS9_ISB_SC_Lm4ESE_iEESI_SC_Lm5ESE_iEESJ_iiiiiiiii,"axG",@progbits,_ZN2at6native12_GLOBAL__N_143conv_depthwise3d_cuda_backward_input_kernelIN3c108BFloat16EfLi3ELi3ELi3ELi1ELi1ELi1ELi1ELi1ELi1EEEvN5torch10headeronly6detail27GenericPackedTensorAccessorINS7_14TensorAccessorINS3_8ArrayRefIlEEKT_Lm4ENS6_16DefaultPtrTraitsEiEENS_6detail16IndexBoundsCheckILm5EiEESD_Lm5ESE_iEENS8_INS9_ISB_SC_Lm4ESE_iEESI_SC_Lm5ESE_iEESJ_iiiiiiiii,comdat
.Lfunc_end27:
	.size	_ZN2at6native12_GLOBAL__N_143conv_depthwise3d_cuda_backward_input_kernelIN3c108BFloat16EfLi3ELi3ELi3ELi1ELi1ELi1ELi1ELi1ELi1EEEvN5torch10headeronly6detail27GenericPackedTensorAccessorINS7_14TensorAccessorINS3_8ArrayRefIlEEKT_Lm4ENS6_16DefaultPtrTraitsEiEENS_6detail16IndexBoundsCheckILm5EiEESD_Lm5ESE_iEENS8_INS9_ISB_SC_Lm4ESE_iEESI_SC_Lm5ESE_iEESJ_iiiiiiiii, .Lfunc_end27-_ZN2at6native12_GLOBAL__N_143conv_depthwise3d_cuda_backward_input_kernelIN3c108BFloat16EfLi3ELi3ELi3ELi1ELi1ELi1ELi1ELi1ELi1EEEvN5torch10headeronly6detail27GenericPackedTensorAccessorINS7_14TensorAccessorINS3_8ArrayRefIlEEKT_Lm4ENS6_16DefaultPtrTraitsEiEENS_6detail16IndexBoundsCheckILm5EiEESD_Lm5ESE_iEENS8_INS9_ISB_SC_Lm4ESE_iEESI_SC_Lm5ESE_iEESJ_iiiiiiiii
                                        ; -- End function
	.set _ZN2at6native12_GLOBAL__N_143conv_depthwise3d_cuda_backward_input_kernelIN3c108BFloat16EfLi3ELi3ELi3ELi1ELi1ELi1ELi1ELi1ELi1EEEvN5torch10headeronly6detail27GenericPackedTensorAccessorINS7_14TensorAccessorINS3_8ArrayRefIlEEKT_Lm4ENS6_16DefaultPtrTraitsEiEENS_6detail16IndexBoundsCheckILm5EiEESD_Lm5ESE_iEENS8_INS9_ISB_SC_Lm4ESE_iEESI_SC_Lm5ESE_iEESJ_iiiiiiiii.num_vgpr, 128
	.set _ZN2at6native12_GLOBAL__N_143conv_depthwise3d_cuda_backward_input_kernelIN3c108BFloat16EfLi3ELi3ELi3ELi1ELi1ELi1ELi1ELi1ELi1EEEvN5torch10headeronly6detail27GenericPackedTensorAccessorINS7_14TensorAccessorINS3_8ArrayRefIlEEKT_Lm4ENS6_16DefaultPtrTraitsEiEENS_6detail16IndexBoundsCheckILm5EiEESD_Lm5ESE_iEENS8_INS9_ISB_SC_Lm4ESE_iEESI_SC_Lm5ESE_iEESJ_iiiiiiiii.num_agpr, 0
	.set _ZN2at6native12_GLOBAL__N_143conv_depthwise3d_cuda_backward_input_kernelIN3c108BFloat16EfLi3ELi3ELi3ELi1ELi1ELi1ELi1ELi1ELi1EEEvN5torch10headeronly6detail27GenericPackedTensorAccessorINS7_14TensorAccessorINS3_8ArrayRefIlEEKT_Lm4ENS6_16DefaultPtrTraitsEiEENS_6detail16IndexBoundsCheckILm5EiEESD_Lm5ESE_iEENS8_INS9_ISB_SC_Lm4ESE_iEESI_SC_Lm5ESE_iEESJ_iiiiiiiii.numbered_sgpr, 81
	.set _ZN2at6native12_GLOBAL__N_143conv_depthwise3d_cuda_backward_input_kernelIN3c108BFloat16EfLi3ELi3ELi3ELi1ELi1ELi1ELi1ELi1ELi1EEEvN5torch10headeronly6detail27GenericPackedTensorAccessorINS7_14TensorAccessorINS3_8ArrayRefIlEEKT_Lm4ENS6_16DefaultPtrTraitsEiEENS_6detail16IndexBoundsCheckILm5EiEESD_Lm5ESE_iEENS8_INS9_ISB_SC_Lm4ESE_iEESI_SC_Lm5ESE_iEESJ_iiiiiiiii.num_named_barrier, 0
	.set _ZN2at6native12_GLOBAL__N_143conv_depthwise3d_cuda_backward_input_kernelIN3c108BFloat16EfLi3ELi3ELi3ELi1ELi1ELi1ELi1ELi1ELi1EEEvN5torch10headeronly6detail27GenericPackedTensorAccessorINS7_14TensorAccessorINS3_8ArrayRefIlEEKT_Lm4ENS6_16DefaultPtrTraitsEiEENS_6detail16IndexBoundsCheckILm5EiEESD_Lm5ESE_iEENS8_INS9_ISB_SC_Lm4ESE_iEESI_SC_Lm5ESE_iEESJ_iiiiiiiii.private_seg_size, 0
	.set _ZN2at6native12_GLOBAL__N_143conv_depthwise3d_cuda_backward_input_kernelIN3c108BFloat16EfLi3ELi3ELi3ELi1ELi1ELi1ELi1ELi1ELi1EEEvN5torch10headeronly6detail27GenericPackedTensorAccessorINS7_14TensorAccessorINS3_8ArrayRefIlEEKT_Lm4ENS6_16DefaultPtrTraitsEiEENS_6detail16IndexBoundsCheckILm5EiEESD_Lm5ESE_iEENS8_INS9_ISB_SC_Lm4ESE_iEESI_SC_Lm5ESE_iEESJ_iiiiiiiii.uses_vcc, 1
	.set _ZN2at6native12_GLOBAL__N_143conv_depthwise3d_cuda_backward_input_kernelIN3c108BFloat16EfLi3ELi3ELi3ELi1ELi1ELi1ELi1ELi1ELi1EEEvN5torch10headeronly6detail27GenericPackedTensorAccessorINS7_14TensorAccessorINS3_8ArrayRefIlEEKT_Lm4ENS6_16DefaultPtrTraitsEiEENS_6detail16IndexBoundsCheckILm5EiEESD_Lm5ESE_iEENS8_INS9_ISB_SC_Lm4ESE_iEESI_SC_Lm5ESE_iEESJ_iiiiiiiii.uses_flat_scratch, 0
	.set _ZN2at6native12_GLOBAL__N_143conv_depthwise3d_cuda_backward_input_kernelIN3c108BFloat16EfLi3ELi3ELi3ELi1ELi1ELi1ELi1ELi1ELi1EEEvN5torch10headeronly6detail27GenericPackedTensorAccessorINS7_14TensorAccessorINS3_8ArrayRefIlEEKT_Lm4ENS6_16DefaultPtrTraitsEiEENS_6detail16IndexBoundsCheckILm5EiEESD_Lm5ESE_iEENS8_INS9_ISB_SC_Lm4ESE_iEESI_SC_Lm5ESE_iEESJ_iiiiiiiii.has_dyn_sized_stack, 0
	.set _ZN2at6native12_GLOBAL__N_143conv_depthwise3d_cuda_backward_input_kernelIN3c108BFloat16EfLi3ELi3ELi3ELi1ELi1ELi1ELi1ELi1ELi1EEEvN5torch10headeronly6detail27GenericPackedTensorAccessorINS7_14TensorAccessorINS3_8ArrayRefIlEEKT_Lm4ENS6_16DefaultPtrTraitsEiEENS_6detail16IndexBoundsCheckILm5EiEESD_Lm5ESE_iEENS8_INS9_ISB_SC_Lm4ESE_iEESI_SC_Lm5ESE_iEESJ_iiiiiiiii.has_recursion, 0
	.set _ZN2at6native12_GLOBAL__N_143conv_depthwise3d_cuda_backward_input_kernelIN3c108BFloat16EfLi3ELi3ELi3ELi1ELi1ELi1ELi1ELi1ELi1EEEvN5torch10headeronly6detail27GenericPackedTensorAccessorINS7_14TensorAccessorINS3_8ArrayRefIlEEKT_Lm4ENS6_16DefaultPtrTraitsEiEENS_6detail16IndexBoundsCheckILm5EiEESD_Lm5ESE_iEENS8_INS9_ISB_SC_Lm4ESE_iEESI_SC_Lm5ESE_iEESJ_iiiiiiiii.has_indirect_call, 0
	.section	.AMDGPU.csdata,"",@progbits
; Kernel info:
; codeLenInByte = 4812
; TotalNumSgprs: 83
; NumVgprs: 128
; ScratchSize: 0
; MemoryBound: 0
; FloatMode: 240
; IeeeMode: 1
; LDSByteSize: 0 bytes/workgroup (compile time only)
; SGPRBlocks: 0
; VGPRBlocks: 7
; NumSGPRsForWavesPerEU: 83
; NumVGPRsForWavesPerEU: 128
; NamedBarCnt: 0
; Occupancy: 8
; WaveLimiterHint : 0
; COMPUTE_PGM_RSRC2:SCRATCH_EN: 0
; COMPUTE_PGM_RSRC2:USER_SGPR: 2
; COMPUTE_PGM_RSRC2:TRAP_HANDLER: 0
; COMPUTE_PGM_RSRC2:TGID_X_EN: 1
; COMPUTE_PGM_RSRC2:TGID_Y_EN: 0
; COMPUTE_PGM_RSRC2:TGID_Z_EN: 0
; COMPUTE_PGM_RSRC2:TIDIG_COMP_CNT: 0
	.section	.text._ZN2at6native12_GLOBAL__N_143conv_depthwise3d_cuda_backward_input_kernelIN3c108BFloat16EfLi3ELi3ELi3ELi1ELi1ELi1ELin1ELin1ELin1EEEvN5torch10headeronly6detail27GenericPackedTensorAccessorINS7_14TensorAccessorINS3_8ArrayRefIlEEKT_Lm4ENS6_16DefaultPtrTraitsEiEENS_6detail16IndexBoundsCheckILm5EiEESD_Lm5ESE_iEENS8_INS9_ISB_SC_Lm4ESE_iEESI_SC_Lm5ESE_iEESJ_iiiiiiiii,"axG",@progbits,_ZN2at6native12_GLOBAL__N_143conv_depthwise3d_cuda_backward_input_kernelIN3c108BFloat16EfLi3ELi3ELi3ELi1ELi1ELi1ELin1ELin1ELin1EEEvN5torch10headeronly6detail27GenericPackedTensorAccessorINS7_14TensorAccessorINS3_8ArrayRefIlEEKT_Lm4ENS6_16DefaultPtrTraitsEiEENS_6detail16IndexBoundsCheckILm5EiEESD_Lm5ESE_iEENS8_INS9_ISB_SC_Lm4ESE_iEESI_SC_Lm5ESE_iEESJ_iiiiiiiii,comdat
	.globl	_ZN2at6native12_GLOBAL__N_143conv_depthwise3d_cuda_backward_input_kernelIN3c108BFloat16EfLi3ELi3ELi3ELi1ELi1ELi1ELin1ELin1ELin1EEEvN5torch10headeronly6detail27GenericPackedTensorAccessorINS7_14TensorAccessorINS3_8ArrayRefIlEEKT_Lm4ENS6_16DefaultPtrTraitsEiEENS_6detail16IndexBoundsCheckILm5EiEESD_Lm5ESE_iEENS8_INS9_ISB_SC_Lm4ESE_iEESI_SC_Lm5ESE_iEESJ_iiiiiiiii ; -- Begin function _ZN2at6native12_GLOBAL__N_143conv_depthwise3d_cuda_backward_input_kernelIN3c108BFloat16EfLi3ELi3ELi3ELi1ELi1ELi1ELin1ELin1ELin1EEEvN5torch10headeronly6detail27GenericPackedTensorAccessorINS7_14TensorAccessorINS3_8ArrayRefIlEEKT_Lm4ENS6_16DefaultPtrTraitsEiEENS_6detail16IndexBoundsCheckILm5EiEESD_Lm5ESE_iEENS8_INS9_ISB_SC_Lm4ESE_iEESI_SC_Lm5ESE_iEESJ_iiiiiiiii
	.p2align	8
	.type	_ZN2at6native12_GLOBAL__N_143conv_depthwise3d_cuda_backward_input_kernelIN3c108BFloat16EfLi3ELi3ELi3ELi1ELi1ELi1ELin1ELin1ELin1EEEvN5torch10headeronly6detail27GenericPackedTensorAccessorINS7_14TensorAccessorINS3_8ArrayRefIlEEKT_Lm4ENS6_16DefaultPtrTraitsEiEENS_6detail16IndexBoundsCheckILm5EiEESD_Lm5ESE_iEENS8_INS9_ISB_SC_Lm4ESE_iEESI_SC_Lm5ESE_iEESJ_iiiiiiiii,@function
_ZN2at6native12_GLOBAL__N_143conv_depthwise3d_cuda_backward_input_kernelIN3c108BFloat16EfLi3ELi3ELi3ELi1ELi1ELi1ELin1ELin1ELin1EEEvN5torch10headeronly6detail27GenericPackedTensorAccessorINS7_14TensorAccessorINS3_8ArrayRefIlEEKT_Lm4ENS6_16DefaultPtrTraitsEiEENS_6detail16IndexBoundsCheckILm5EiEESD_Lm5ESE_iEENS8_INS9_ISB_SC_Lm4ESE_iEESI_SC_Lm5ESE_iEESJ_iiiiiiiii: ; @_ZN2at6native12_GLOBAL__N_143conv_depthwise3d_cuda_backward_input_kernelIN3c108BFloat16EfLi3ELi3ELi3ELi1ELi1ELi1ELin1ELin1ELin1EEEvN5torch10headeronly6detail27GenericPackedTensorAccessorINS7_14TensorAccessorINS3_8ArrayRefIlEEKT_Lm4ENS6_16DefaultPtrTraitsEiEENS_6detail16IndexBoundsCheckILm5EiEESD_Lm5ESE_iEENS8_INS9_ISB_SC_Lm4ESE_iEESI_SC_Lm5ESE_iEESJ_iiiiiiiii
; %bb.0:
	s_clause 0x2
	s_load_b128 s[36:39], s[0:1], 0x38
	s_load_b32 s2, s[0:1], 0xc4
	s_load_b64 s[30:31], s[0:1], 0x48
	s_bfe_u32 s3, ttmp6, 0x4000c
	s_and_b32 s4, ttmp6, 15
	s_add_co_i32 s3, s3, 1
	s_getreg_b32 s5, hwreg(HW_REG_IB_STS2, 6, 4)
	s_mul_i32 s3, ttmp9, s3
	v_mov_b32_e32 v1, 0
	s_add_co_i32 s4, s4, s3
                                        ; implicit-def: $vgpr126 : SGPR spill to VGPR lane
	s_mov_b32 s53, 0
	s_wait_kmcnt 0x0
	s_abs_i32 s33, s37
	s_and_b32 s2, s2, 0xffff
	s_cmp_eq_u32 s5, 0
	s_cselect_b32 s3, ttmp9, s4
	s_mul_i32 s4, s31, s36
	v_mad_nc_u64_u32 v[2:3], s2, s3, v[0:1]
	s_cvt_f32_u32 s3, s33
	s_ashr_i32 s5, s4, 31
	v_writelane_b32 v126, s4, 0
	s_delay_alu instid0(SALU_CYCLE_1) | instskip(SKIP_1) | instid1(VALU_DEP_3)
	v_rcp_iflag_f32_e32 v0, s3
	v_writelane_b32 v126, s5, 1
	v_cmp_gt_i64_e32 vcc_lo, s[4:5], v[2:3]
	s_delay_alu instid0(TRANS32_DEP_1)
	v_readfirstlane_b32 s3, v0
	s_and_saveexec_b32 s4, vcc_lo
	s_cbranch_execz .LBB28_62
; %bb.1:
	s_clause 0x1
	s_load_b64 s[10:11], s[0:1], 0xa0
	s_load_b128 s[40:43], s[0:1], 0xc
	s_mul_f32 s3, s3, 0x4f7ffffe
	s_sub_co_i32 s8, 0, s33
	s_add_nc_u64 s[6:7], s[0:1], 0xb8
	s_ashr_i32 s9, s37, 31
	s_cvt_u32_f32 s3, s3
	s_mov_b32 s5, s53
                                        ; kill: killed $sgpr0_sgpr1
	s_mov_b32 s13, s53
	s_mov_b32 s73, s53
	s_mul_i32 s4, s8, s3
	s_mov_b32 s75, s53
	s_mul_hi_u32 s4, s3, s4
	s_mov_b32 s77, s53
	s_add_co_i32 s4, s3, s4
	s_mov_b32 s92, s53
	s_load_b128 s[48:51], s[0:1], 0x50
	s_wait_kmcnt 0x0
	v_writelane_b32 v126, s10, 2
	v_writelane_b32 v126, s11, 3
	s_clause 0x1
	s_load_b128 s[44:47], s[0:1], 0x90
	s_load_b32 s10, s[0:1], 0x7c
	s_load_b32 s3, s[6:7], 0x0
	s_wait_kmcnt 0x0
	v_writelane_b32 v126, s10, 4
	s_load_b64 s[10:11], s[0:1], 0x0
	s_abs_i32 s52, s40
	s_delay_alu instid0(SALU_CYCLE_1)
	s_mul_u64 s[4:5], s[52:53], s[4:5]
	s_ashr_i32 s4, s40, 31
	s_mul_i32 s6, s5, s33
	s_xor_b32 s4, s4, s9
	s_sub_co_i32 s6, s52, s6
	s_add_co_i32 s7, s5, 1
	s_mul_i32 s52, s3, s2
	s_wait_kmcnt 0x0
	v_writelane_b32 v126, s10, 5
	v_writelane_b32 v126, s11, 6
	s_clause 0x1
	s_load_b64 s[58:59], s[0:1], 0x1c
	s_load_b64 s[10:11], s[0:1], 0x30
	v_writelane_b32 v126, s9, 7
	s_sub_co_i32 s9, s6, s33
	s_cmp_ge_u32 s6, s33
	s_cselect_b32 s5, s7, s5
	s_cselect_b32 s6, s9, s6
	s_add_co_i32 s7, s5, 1
	s_cmp_ge_u32 s6, s33
	s_wait_kmcnt 0x0
	v_writelane_b32 v126, s10, 8
	v_writelane_b32 v126, s11, 9
	s_load_b64 s[10:11], s[0:1], 0x60
	s_wait_xcnt 0x0
	s_cselect_b32 s0, s7, s5
	s_delay_alu instid0(SALU_CYCLE_1) | instskip(NEXT) | instid1(SALU_CYCLE_1)
	s_xor_b32 s0, s0, s4
	s_sub_co_i32 s40, s0, s4
	v_readfirstlane_b32 s0, v0
	s_cmp_gt_i32 s40, 0
	s_cselect_b32 s1, -1, 0
	s_abs_i32 s80, s30
	s_abs_i32 s81, s39
	s_ashr_i32 s4, s30, 31
	s_cvt_f32_u32 s2, s81
	s_abs_i32 s82, s38
	s_abs_i32 s86, s44
	s_cvt_f32_u32 s3, s82
	v_rcp_iflag_f32_e32 v4, s2
	s_sub_co_i32 s5, 0, s81
	s_cvt_f32_u32 s7, s86
	s_wait_kmcnt 0x0
	v_writelane_b32 v126, s10, 10
	v_rcp_iflag_f32_e32 v5, s3
	s_sub_co_i32 s6, 0, s82
	s_abs_i32 s87, s45
	v_nop
	v_readfirstlane_b32 s3, v4
	v_writelane_b32 v126, s11, 11
	s_mov_b32 s11, s53
	s_abs_i32 s88, s46
	s_mul_f32 s0, s0, 0x4f7ffffe
	s_mul_f32 s3, s3, 0x4f7ffffe
	v_writelane_b32 v126, s1, 12
	s_cvt_f32_u32 s1, s80
	s_cvt_u32_f32 s0, s0
	s_cvt_u32_f32 s3, s3
	s_ashr_i32 s89, s44, 31
	v_rcp_iflag_f32_e32 v0, s1
	v_writelane_b32 v126, s4, 13
	s_ashr_i32 s1, s39, 31
	v_readfirstlane_b32 s4, v5
	s_mul_i32 s5, s5, s3
	s_mul_i32 s8, s8, s0
	v_writelane_b32 v126, s1, 14
	v_readfirstlane_b32 s2, v0
	s_ashr_i32 s1, s38, 31
	s_mul_f32 s4, s4, 0x4f7ffffe
	s_mul_hi_u32 s5, s3, s5
	v_writelane_b32 v126, s1, 15
	s_mul_f32 s2, s2, 0x4f7ffffe
	s_sub_co_i32 s1, 0, s80
	s_cvt_u32_f32 s4, s4
	v_rcp_iflag_f32_e32 v0, s7
	s_cvt_u32_f32 s2, s2
	s_add_co_i32 s12, s3, s5
	s_mul_i32 s6, s6, s4
	s_mov_b32 s5, s53
	s_mul_i32 s1, s1, s2
	s_mul_hi_u32 s3, s0, s8
	s_mul_hi_u32 s1, s2, s1
	s_mov_b32 s7, s53
	s_add_co_i32 s10, s2, s1
	s_mul_hi_u32 s1, s4, s6
	v_writelane_b32 v126, s10, 16
	s_add_co_i32 s4, s4, s1
	s_cvt_f32_u32 s1, s87
	v_readfirstlane_b32 s2, v0
	s_add_co_i32 s6, s0, s3
	v_writelane_b32 v126, s11, 17
	v_rcp_iflag_f32_e32 v0, s1
	s_cvt_f32_u32 s1, s88
	s_mul_f32 s2, s2, 0x4f7ffffe
	s_ashr_i32 s90, s45, 31
	v_writelane_b32 v126, s12, 18
	v_rcp_iflag_f32_e32 v4, s1
	s_cvt_u32_f32 s2, s2
	v_nop
	v_readfirstlane_b32 s1, v0
	s_ashr_i32 s91, s46, 31
	v_writelane_b32 v126, s13, 19
	s_delay_alu instid0(TRANS32_DEP_1) | instskip(SKIP_4) | instid1(SALU_CYCLE_1)
	v_readfirstlane_b32 s3, v4
	s_mul_f32 s1, s1, 0x4f7ffffe
	v_writelane_b32 v126, s4, 20
	v_writelane_b32 v126, s5, 21
	s_sub_co_i32 s4, 0, s86
	s_mul_i32 s4, s4, s2
	s_delay_alu instid0(SALU_CYCLE_1)
	s_mul_hi_u32 s0, s2, s4
	v_writelane_b32 v126, s6, 22
	s_add_co_i32 s72, s2, s0
	s_cvt_u32_f32 s0, s1
	s_mul_f32 s1, s3, 0x4f7ffffe
	s_sub_co_i32 s2, 0, s87
	s_sub_co_i32 s3, 0, s88
	s_mul_i32 s2, s2, s0
	s_cvt_u32_f32 s1, s1
	s_mul_hi_u32 s2, s0, s2
	v_writelane_b32 v126, s7, 23
	s_add_co_i32 s74, s0, s2
	s_mul_i32 s3, s3, s1
	s_delay_alu instid0(SALU_CYCLE_1) | instskip(NEXT) | instid1(SALU_CYCLE_1)
	s_mul_hi_u32 s0, s1, s3
	s_add_co_i32 s76, s1, s0
	s_branch .LBB28_4
.LBB28_2:                               ;   in Loop: Header=BB28_4 Depth=1
	s_or_b32 exec_lo, exec_lo, s93
.LBB28_3:                               ;   in Loop: Header=BB28_4 Depth=1
	v_mul_lo_u32 v4, v69, s31
	v_mul_lo_u32 v6, s48, v70
	;; [unrolled: 1-line block ×3, first 2 shown]
	v_readlane_b32 s0, v126, 8
	v_readlane_b32 s1, v126, 9
	v_mul_lo_u32 v10, s50, v67
	v_mul_lo_u32 v12, s51, v66
	v_bfe_u32 v0, v73, 16, 1
	v_add_nc_u64_e32 v[2:3], s[52:53], v[2:3]
	v_dual_ashrrev_i32 v5, 31, v4 :: v_dual_ashrrev_i32 v7, 31, v6
	v_ashrrev_i32_e32 v9, 31, v8
	s_delay_alu instid0(VALU_DEP_4) | instskip(SKIP_1) | instid1(VALU_DEP_4)
	v_add3_u32 v0, v73, v0, 0x7fff
	v_ashrrev_i32_e32 v11, 31, v10
	v_lshl_add_u64 v[4:5], v[4:5], 1, s[0:1]
	v_readlane_b32 s0, v126, 0
	v_readlane_b32 s1, v126, 1
	v_lshrrev_b32_e32 v0, 16, v0
	v_ashrrev_i32_e32 v13, 31, v12
	v_lshl_add_u64 v[4:5], v[6:7], 1, v[4:5]
	s_delay_alu instid0(VALU_DEP_4) | instskip(SKIP_1) | instid1(VALU_DEP_3)
	v_cmp_le_i64_e32 vcc_lo, s[0:1], v[2:3]
	v_cmp_o_f32_e64 s0, v73, v73
	v_lshl_add_u64 v[4:5], v[8:9], 1, v[4:5]
	s_delay_alu instid0(VALU_DEP_2) | instskip(SKIP_1) | instid1(VALU_DEP_2)
	v_cndmask_b32_e64 v0, 0x7fc0, v0, s0
	s_or_b32 s92, vcc_lo, s92
	v_lshl_add_u64 v[4:5], v[10:11], 1, v[4:5]
	s_delay_alu instid0(VALU_DEP_1)
	v_lshl_add_u64 v[4:5], v[12:13], 1, v[4:5]
	global_store_b16 v[4:5], v0, off
	s_wait_xcnt 0x0
	s_and_not1_b32 exec_lo, exec_lo, s92
	s_cbranch_execz .LBB28_62
.LBB28_4:                               ; =>This Loop Header: Depth=1
                                        ;     Child Loop BB28_7 Depth 2
	v_sub_nc_u32_e32 v0, 0, v2
	v_readlane_b32 s0, v126, 16
	v_readlane_b32 s1, v126, 17
	s_delay_alu instid0(VALU_DEP_3) | instskip(NEXT) | instid1(VALU_DEP_1)
	v_max_i32_e32 v0, v2, v0
	v_mul_u64_e32 v[4:5], s[0:1], v[0:1]
	v_readlane_b32 s0, v126, 13
	s_delay_alu instid0(VALU_DEP_2) | instskip(NEXT) | instid1(VALU_DEP_1)
	v_mul_lo_u32 v4, v5, s80
	v_dual_sub_nc_u32 v0, v0, v4 :: v_dual_add_nc_u32 v4, 1, v5
	s_delay_alu instid0(VALU_DEP_1) | instskip(NEXT) | instid1(VALU_DEP_2)
	v_cmp_le_u32_e32 vcc_lo, s80, v0
	v_cndmask_b32_e32 v4, v5, v4, vcc_lo
	v_subrev_nc_u32_e32 v6, s80, v0
	v_ashrrev_i32_e32 v5, 31, v2
	s_delay_alu instid0(VALU_DEP_2) | instskip(NEXT) | instid1(VALU_DEP_1)
	v_dual_cndmask_b32 v0, v0, v6, vcc_lo :: v_dual_add_nc_u32 v6, 1, v4
	v_cmp_le_u32_e32 vcc_lo, s80, v0
	s_delay_alu instid0(VALU_DEP_3) | instskip(SKIP_3) | instid1(VALU_DEP_1)
	v_xor_b32_e32 v5, s0, v5
	v_readlane_b32 s0, v126, 18
	v_readlane_b32 s1, v126, 19
	v_cndmask_b32_e32 v0, v4, v6, vcc_lo
	v_xor_b32_e32 v0, v0, v5
	s_delay_alu instid0(VALU_DEP_1) | instskip(NEXT) | instid1(VALU_DEP_1)
	v_sub_nc_u32_e32 v6, v0, v5
	v_sub_nc_u32_e32 v0, 0, v6
	s_delay_alu instid0(VALU_DEP_1) | instskip(NEXT) | instid1(VALU_DEP_1)
	v_max_i32_e32 v0, v6, v0
	v_mul_u64_e32 v[4:5], s[0:1], v[0:1]
	v_readlane_b32 s0, v126, 14
	s_delay_alu instid0(VALU_DEP_2) | instskip(NEXT) | instid1(VALU_DEP_1)
	v_mul_lo_u32 v4, v5, s81
	v_dual_sub_nc_u32 v0, v0, v4 :: v_dual_add_nc_u32 v4, 1, v5
	s_delay_alu instid0(VALU_DEP_1) | instskip(SKIP_1) | instid1(VALU_DEP_2)
	v_subrev_nc_u32_e32 v7, s81, v0
	v_cmp_le_u32_e32 vcc_lo, s81, v0
	v_dual_cndmask_b32 v4, v5, v4, vcc_lo :: v_dual_cndmask_b32 v0, v0, v7, vcc_lo
	s_delay_alu instid0(VALU_DEP_1) | instskip(NEXT) | instid1(VALU_DEP_2)
	v_dual_ashrrev_i32 v5, 31, v6 :: v_dual_add_nc_u32 v7, 1, v4
	v_cmp_le_u32_e32 vcc_lo, s81, v0
	s_delay_alu instid0(VALU_DEP_2) | instskip(SKIP_3) | instid1(VALU_DEP_1)
	v_xor_b32_e32 v5, s0, v5
	v_readlane_b32 s0, v126, 20
	v_readlane_b32 s1, v126, 21
	v_cndmask_b32_e32 v0, v4, v7, vcc_lo
	v_xor_b32_e32 v0, v0, v5
	s_delay_alu instid0(VALU_DEP_1) | instskip(NEXT) | instid1(VALU_DEP_1)
	v_sub_nc_u32_e32 v7, v0, v5
	v_sub_nc_u32_e32 v0, 0, v7
	s_delay_alu instid0(VALU_DEP_1) | instskip(NEXT) | instid1(VALU_DEP_1)
	v_max_i32_e32 v0, v7, v0
	v_mul_u64_e32 v[4:5], s[0:1], v[0:1]
	v_readlane_b32 s0, v126, 15
	s_delay_alu instid0(VALU_DEP_2) | instskip(NEXT) | instid1(VALU_DEP_1)
	v_mul_lo_u32 v4, v5, s82
	v_dual_sub_nc_u32 v0, v0, v4 :: v_dual_add_nc_u32 v4, 1, v5
	s_delay_alu instid0(VALU_DEP_1) | instskip(SKIP_1) | instid1(VALU_DEP_3)
	v_subrev_nc_u32_e32 v8, s82, v0
	v_cmp_le_u32_e32 vcc_lo, s82, v0
	v_dual_cndmask_b32 v4, v5, v4 :: v_dual_ashrrev_i32 v5, 31, v7
	s_delay_alu instid0(VALU_DEP_1) | instskip(NEXT) | instid1(VALU_DEP_2)
	v_dual_cndmask_b32 v0, v0, v8, vcc_lo :: v_dual_bitop2_b32 v5, s0, v5 bitop3:0x14
	v_add_nc_u32_e32 v8, 1, v4
	s_delay_alu instid0(VALU_DEP_2) | instskip(SKIP_2) | instid1(VALU_DEP_4)
	v_cmp_le_u32_e32 vcc_lo, s82, v0
	v_readlane_b32 s0, v126, 22
	v_readlane_b32 s1, v126, 23
	v_cndmask_b32_e32 v0, v4, v8, vcc_lo
	s_delay_alu instid0(VALU_DEP_1) | instskip(NEXT) | instid1(VALU_DEP_1)
	v_xor_b32_e32 v0, v0, v5
	v_sub_nc_u32_e32 v8, v0, v5
	s_delay_alu instid0(VALU_DEP_1) | instskip(NEXT) | instid1(VALU_DEP_1)
	v_sub_nc_u32_e32 v0, 0, v8
	v_max_i32_e32 v0, v8, v0
	s_delay_alu instid0(VALU_DEP_1) | instskip(SKIP_1) | instid1(VALU_DEP_2)
	v_mul_u64_e32 v[4:5], s[0:1], v[0:1]
	v_readlane_b32 s0, v126, 7
	v_mul_lo_u32 v4, v5, s33
	s_delay_alu instid0(VALU_DEP_1) | instskip(NEXT) | instid1(VALU_DEP_1)
	v_dual_sub_nc_u32 v0, v0, v4 :: v_dual_add_nc_u32 v4, 1, v5
	v_subrev_nc_u32_e32 v9, s33, v0
	v_cmp_le_u32_e32 vcc_lo, s33, v0
	s_delay_alu instid0(VALU_DEP_2) | instskip(SKIP_1) | instid1(VALU_DEP_2)
	v_dual_cndmask_b32 v4, v5, v4, vcc_lo :: v_dual_cndmask_b32 v0, v0, v9, vcc_lo
	v_ashrrev_i32_e32 v5, 31, v8
	v_add_nc_u32_e32 v9, 1, v4
	s_delay_alu instid0(VALU_DEP_3) | instskip(NEXT) | instid1(VALU_DEP_3)
	v_cmp_le_u32_e32 vcc_lo, s33, v0
	v_xor_b32_e32 v5, s0, v5
	v_readlane_b32 s0, v126, 12
	s_delay_alu instid0(VALU_DEP_4) | instskip(SKIP_2) | instid1(VALU_DEP_1)
	v_cndmask_b32_e32 v0, v4, v9, vcc_lo
	v_mul_lo_u32 v4, v7, s39
	s_and_not1_b32 vcc_lo, exec_lo, s0
	v_dual_sub_nc_u32 v67, v6, v4 :: v_dual_bitop2_b32 v0, v0, v5 bitop3:0x14
	s_delay_alu instid0(VALU_DEP_1) | instskip(SKIP_2) | instid1(VALU_DEP_2)
	v_sub_nc_u32_e32 v69, v0, v5
	v_mul_lo_u32 v0, v6, s30
	v_mul_lo_u32 v5, v8, s38
	v_sub_nc_u32_e32 v66, v2, v0
	s_delay_alu instid0(VALU_DEP_4) | instskip(NEXT) | instid1(VALU_DEP_3)
	v_mul_lo_u32 v9, v69, s37
	v_sub_nc_u32_e32 v68, v7, v5
	s_delay_alu instid0(VALU_DEP_2)
	v_sub_nc_u32_e32 v70, v8, v9
	s_cbranch_vccnz .LBB28_61
; %bb.5:                                ;   in Loop: Header=BB28_4 Depth=1
	v_readlane_b32 s0, v126, 2
	s_delay_alu instid0(VALU_DEP_3) | instskip(SKIP_3) | instid1(VALU_DEP_4)
	v_add_nc_u32_e32 v14, s47, v68
	v_readlane_b32 s1, v126, 3
	v_mul_lo_u32 v71, v70, s40
	v_mul_lo_u32 v12, s58, v69
	v_dual_add_nc_u32 v15, s0, v67 :: v_dual_sub_nc_u32 v0, 0, v14
	v_dual_ashrrev_i32 v13, 31, v14 :: v_dual_sub_nc_u32 v27, 2, v14
	s_delay_alu instid0(VALU_DEP_2) | instskip(NEXT) | instid1(VALU_DEP_3)
	v_dual_add_nc_u32 v23, -1, v14 :: v_dual_sub_nc_u32 v5, 0, v15
	v_dual_add_nc_u32 v17, s1, v66 :: v_dual_max_i32 v0, v14, v0
	v_dual_ashrrev_i32 v18, 31, v15 :: v_dual_sub_nc_u32 v20, 1, v15
	v_add_nc_u32_e32 v26, -2, v14
	s_delay_alu instid0(VALU_DEP_3) | instskip(NEXT) | instid1(VALU_DEP_4)
	v_mul_u64_e32 v[6:7], s[72:73], v[0:1]
	v_dual_ashrrev_i32 v19, 31, v17 :: v_dual_add_nc_u32 v24, -1, v15
	s_delay_alu instid0(VALU_DEP_3) | instskip(SKIP_1) | instid1(VALU_DEP_2)
	v_dual_ashrrev_i32 v34, 31, v23 :: v_dual_ashrrev_i32 v33, 31, v26
	s_mul_i32 s0, s59, s40
	v_dual_ashrrev_i32 v25, 31, v24 :: v_dual_bitop2_b32 v32, s91, v19 bitop3:0x14
	v_dual_sub_nc_u32 v28, 1, v14 :: v_dual_add_nc_u32 v46, -1, v17
	v_dual_sub_nc_u32 v29, 1, v17 :: v_dual_add_nc_u32 v64, -2, v17
	v_dual_sub_nc_u32 v22, 2, v17 :: v_dual_bitop2_b32 v31, s90, v18 bitop3:0x14
	s_delay_alu instid0(VALU_DEP_3) | instskip(SKIP_1) | instid1(VALU_DEP_3)
	v_ashrrev_i32_e32 v35, 31, v46
	s_mov_b32 s93, 0
	v_dual_ashrrev_i32 v36, 31, v64 :: v_dual_add_nc_u32 v16, -2, v15
	v_dual_mov_b32 v73, 0 :: v_dual_bitop2_b32 v30, s89, v13 bitop3:0x14
	s_delay_alu instid0(VALU_DEP_2) | instskip(SKIP_1) | instid1(VALU_DEP_1)
	v_dual_add_nc_u32 v72, s40, v71 :: v_dual_ashrrev_i32 v19, 31, v16
	v_mul_lo_u32 v4, v7, s86
	v_dual_sub_nc_u32 v6, v0, v4 :: v_dual_max_i32 v0, v15, v5
	s_delay_alu instid0(VALU_DEP_1) | instskip(NEXT) | instid1(VALU_DEP_2)
	v_cmp_le_u32_e32 vcc_lo, s86, v6
	v_mul_u64_e32 v[8:9], s[74:75], v[0:1]
	v_subrev_nc_u32_e32 v38, s86, v6
	v_xor_b32_e32 v34, s89, v34
	s_delay_alu instid0(VALU_DEP_2) | instskip(NEXT) | instid1(VALU_DEP_4)
	v_cndmask_b32_e32 v6, v6, v38, vcc_lo
	v_mul_lo_u32 v4, v9, s87
	s_delay_alu instid0(VALU_DEP_1) | instskip(NEXT) | instid1(VALU_DEP_1)
	v_dual_sub_nc_u32 v5, 0, v17 :: v_dual_sub_nc_u32 v8, v0, v4
	v_max_i32_e32 v0, v17, v5
	s_delay_alu instid0(VALU_DEP_1) | instskip(NEXT) | instid1(VALU_DEP_1)
	v_mul_u64_e32 v[10:11], s[76:77], v[0:1]
	v_mul_lo_u32 v4, v11, s88
	s_delay_alu instid0(VALU_DEP_1) | instskip(NEXT) | instid1(VALU_DEP_1)
	v_dual_sub_nc_u32 v5, 2, v15 :: v_dual_sub_nc_u32 v10, v0, v4
	v_max_i32_e32 v0, v16, v5
	s_delay_alu instid0(VALU_DEP_1) | instskip(SKIP_2) | instid1(VALU_DEP_1)
	v_mul_u64_e32 v[4:5], s[74:75], v[0:1]
	v_mul_lo_u32 v4, s0, v70
	v_readlane_b32 s0, v126, 4
	v_mul_lo_u32 v18, s0, v71
	v_readlane_b32 s0, v126, 5
	v_readlane_b32 s1, v126, 6
	v_mul_lo_u32 v13, v5, s87
	s_delay_alu instid0(VALU_DEP_1) | instskip(NEXT) | instid1(VALU_DEP_1)
	v_dual_add_nc_u32 v21, 1, v7 :: v_dual_sub_nc_u32 v37, v0, v13
	v_dual_cndmask_b32 v7, v7, v21 :: v_dual_max_i32 v0, v24, v20
	v_xor_b32_e32 v39, s90, v25
	v_dual_add_nc_u32 v25, 1, v9 :: v_dual_ashrrev_i32 v13, 31, v12
	s_delay_alu instid0(VALU_DEP_3) | instskip(SKIP_3) | instid1(VALU_DEP_2)
	v_mul_u64_e32 v[20:21], s[74:75], v[0:1]
	v_xor_b32_e32 v20, s90, v19
	v_add_nc_u32_e32 v19, 1, v7
	v_cmp_le_u32_e32 vcc_lo, s86, v6
	v_dual_cndmask_b32 v6, v7, v19, vcc_lo :: v_dual_bitop2_b32 v33, s89, v33 bitop3:0x14
	v_subrev_nc_u32_e32 v7, s87, v8
	v_cmp_le_u32_e32 vcc_lo, s87, v8
	v_ashrrev_i32_e32 v19, 31, v18
	s_delay_alu instid0(VALU_DEP_3) | instskip(SKIP_2) | instid1(VALU_DEP_3)
	v_dual_cndmask_b32 v7, v8, v7, vcc_lo :: v_dual_bitop2_b32 v6, v6, v30 bitop3:0x14
	v_dual_cndmask_b32 v9, v9, v25, vcc_lo :: v_dual_bitop2_b32 v25, s91, v35 bitop3:0x14
	v_xor_b32_e32 v48, s91, v36
	v_cmp_le_u32_e32 vcc_lo, s87, v7
	s_delay_alu instid0(VALU_DEP_3) | instskip(NEXT) | instid1(VALU_DEP_1)
	v_dual_add_nc_u32 v8, 1, v9 :: v_dual_sub_nc_u32 v47, v6, v30
	v_dual_cndmask_b32 v7, v9, v8 :: v_dual_add_nc_u32 v6, 1, v11
	v_cmp_le_u32_e32 vcc_lo, s88, v10
	s_delay_alu instid0(VALU_DEP_3) | instskip(SKIP_4) | instid1(VALU_DEP_4)
	v_mul_lo_u32 v30, v47, s44
	v_subrev_nc_u32_e32 v8, s88, v10
	v_mul_lo_u32 v35, v47, s42
	v_cmp_gt_i32_e64 s26, s41, v47
	v_mul_lo_u32 v40, v21, s87
	v_dual_cndmask_b32 v11, v11, v6 :: v_dual_cndmask_b32 v10, v10, v8
	v_xor_b32_e32 v36, v7, v31
	v_lshl_add_u64 v[6:7], v[12:13], 1, s[0:1]
	v_readlane_b32 s0, v126, 10
	v_readlane_b32 s1, v126, 11
	v_add_nc_u32_e32 v38, 1, v11
	v_cmp_le_u32_e32 vcc_lo, s88, v10
	s_delay_alu instid0(VALU_DEP_3)
	v_lshl_add_u64 v[8:9], v[18:19], 1, s[0:1]
	v_cmp_eq_u32_e64 s1, v30, v14
	v_sub_nc_u32_e32 v14, v0, v40
	v_dual_cndmask_b32 v10, v11, v38 :: v_dual_sub_nc_u32 v49, v36, v31
	v_add_nc_u32_e32 v18, 1, v5
	v_cmp_le_u32_e32 vcc_lo, s87, v37
	v_max_i32_e32 v0, v26, v27
	s_delay_alu instid0(VALU_DEP_4) | instskip(SKIP_3) | instid1(VALU_DEP_4)
	v_dual_add_nc_u32 v12, v49, v35 :: v_dual_bitop2_b32 v10, v10, v32 bitop3:0x14
	v_mul_lo_u32 v11, v49, s45
	v_cndmask_b32_e32 v5, v5, v18, vcc_lo
	v_cmp_le_u32_e64 s0, s87, v14
	v_mul_lo_u32 v50, v12, s43
	v_mul_u64_e32 v[12:13], s[72:73], v[0:1]
	v_sub_nc_u32_e32 v30, v10, v32
	v_subrev_nc_u32_e32 v10, s87, v37
	v_add_nc_u32_e32 v12, 1, v5
	v_cmp_gt_i32_e64 s17, s42, v49
	s_delay_alu instid0(VALU_DEP_3) | instskip(SKIP_3) | instid1(VALU_DEP_4)
	v_cndmask_b32_e32 v10, v37, v10, vcc_lo
	v_cmp_eq_u32_e64 s5, v11, v15
	v_mul_lo_u32 v11, v30, s46
	v_cmp_gt_i32_e64 s2, s43, v30
	v_cmp_le_u32_e32 vcc_lo, s87, v10
	v_or_b32_e32 v31, v30, v49
	s_and_b32 s36, s1, s5
	s_and_b32 s12, s2, s17
	s_delay_alu instid0(VALU_DEP_1) | instskip(SKIP_2) | instid1(VALU_DEP_3)
	v_dual_cndmask_b32 v5, v5, v12, vcc_lo :: v_dual_bitop2_b32 v15, v31, v47 bitop3:0x54
	v_add_nc_u32_e32 v10, v30, v50
	v_cmp_eq_u32_e64 s7, v11, v17
	v_dual_add_nc_u32 v12, 1, v21 :: v_dual_bitop2_b32 v5, v5, v20 bitop3:0x14
	s_delay_alu instid0(VALU_DEP_4) | instskip(NEXT) | instid1(VALU_DEP_4)
	v_cmp_lt_i32_e32 vcc_lo, -1, v15
	v_ashrrev_i32_e32 v11, 31, v10
	v_subrev_nc_u32_e32 v15, s87, v14
	s_delay_alu instid0(VALU_DEP_4) | instskip(SKIP_2) | instid1(VALU_DEP_2)
	v_sub_nc_u32_e32 v5, v5, v20
	s_and_b32 s3, s12, vcc_lo
	s_and_b32 vcc_lo, s36, s7
	v_dual_cndmask_b32 v14, v14, v15, s0 :: v_dual_cndmask_b32 v12, v21, v12, s0
	s_delay_alu instid0(VALU_DEP_2) | instskip(SKIP_2) | instid1(VALU_DEP_4)
	v_or_b32_e32 v32, v30, v5
	v_mul_lo_u32 v18, v13, s86
	v_mul_lo_u32 v17, v5, s45
	v_dual_add_nc_u32 v19, v5, v35 :: v_dual_add_nc_u32 v15, 1, v12
	v_cmp_le_u32_e64 s0, s87, v14
	v_or_b32_e32 v20, v32, v47
	v_cmp_gt_i32_e64 s18, s42, v5
	s_delay_alu instid0(VALU_DEP_4)
	v_mul_lo_u32 v51, v19, s43
	s_and_b32 s94, s3, s26
	v_dual_cndmask_b32 v12, v12, v15, s0 :: v_dual_add_nc_u32 v15, 1, v13
	v_dual_sub_nc_u32 v14, v0, v18 :: v_dual_max_i32 v0, v23, v28
	v_cmp_eq_u32_e64 s6, v17, v16
	v_cmp_lt_i32_e64 s0, -1, v20
	s_and_b32 s13, s2, s18
	v_mul_u64_e32 v[16:17], s[72:73], v[0:1]
	v_subrev_nc_u32_e32 v16, s86, v14
	s_and_b32 s3, s13, s0
	v_cmp_le_u32_e64 s0, s86, v14
	v_xor_b32_e32 v12, v12, v39
	s_and_b32 s95, s3, s26
	s_and_b32 s61, s1, s6
	v_dual_cndmask_b32 v13, v13, v15, s0 :: v_dual_cndmask_b32 v14, v14, v16, s0
	s_delay_alu instid0(VALU_DEP_2) | instskip(NEXT) | instid1(VALU_DEP_2)
	v_sub_nc_u32_e32 v52, v12, v39
	v_dual_add_nc_u32 v12, v30, v51 :: v_dual_add_nc_u32 v16, 1, v13
	s_delay_alu instid0(VALU_DEP_3) | instskip(NEXT) | instid1(VALU_DEP_3)
	v_cmp_le_u32_e64 s0, s86, v14
	v_dual_add_nc_u32 v18, v52, v35 :: v_dual_bitop2_b32 v28, v30, v52 bitop3:0x54
	v_mul_lo_u32 v15, v52, s45
	v_cmp_gt_i32_e64 s19, s42, v52
	s_delay_alu instid0(VALU_DEP_3) | instskip(NEXT) | instid1(VALU_DEP_4)
	v_dual_cndmask_b32 v13, v13, v16, s0 :: v_dual_bitop2_b32 v19, v28, v47 bitop3:0x54
	v_mul_lo_u32 v53, v18, s43
	s_and_b32 s0, s61, s7
	s_and_b32 s14, s2, s19
	v_cmp_eq_u32_e64 s8, v15, v24
	v_mul_lo_u32 v20, v17, s86
	s_delay_alu instid0(VALU_DEP_3)
	v_add_nc_u32_e32 v14, v30, v53
	v_dual_ashrrev_i32 v13, 31, v12 :: v_dual_bitop2_b32 v16, v13, v33 bitop3:0x14
	v_cmp_lt_i32_e64 s3, -1, v19
	s_and_b32 s79, s1, s8
	v_dual_ashrrev_i32 v15, 31, v14 :: v_dual_sub_nc_u32 v57, v16, v33
	s_and_b32 s1, s79, s7
	s_and_b32 s2, s14, s3
	s_delay_alu instid0(SALU_CYCLE_1) | instskip(NEXT) | instid1(VALU_DEP_1)
	s_and_b32 s96, s2, s26
	v_mul_lo_u32 v24, v57, s42
	v_or_b32_e32 v19, v32, v57
	s_delay_alu instid0(VALU_DEP_1) | instskip(NEXT) | instid1(VALU_DEP_3)
	v_cmp_lt_i32_e64 s4, -1, v19
	v_add_nc_u32_e32 v19, v49, v24
	v_mul_lo_u32 v21, v57, s44
	v_or_b32_e32 v16, v31, v57
	v_or_b32_e32 v18, v28, v57
	v_cmp_gt_i32_e64 s27, s41, v57
	v_mul_lo_u32 v58, v19, s43
	s_and_b32 s4, s13, s4
	v_cmp_lt_i32_e64 s3, -1, v18
	v_sub_nc_u32_e32 v18, v0, v20
	v_add_nc_u32_e32 v20, v52, v24
	v_cmp_lt_i32_e64 s2, -1, v16
	s_and_b32 s99, s4, s27
	s_and_b32 s10, s14, s3
	v_cmp_le_u32_e64 s3, s86, v18
	v_mul_lo_u32 v59, v20, s43
	s_and_b32 s9, s12, s2
	v_cmp_eq_u32_e64 s2, v21, v26
	v_add_nc_u32_e32 v21, v5, v24
	v_subrev_nc_u32_e32 v24, s86, v18
	v_add_nc_u32_e32 v16, 1, v17
	s_and_b32 s97, s9, s27
	s_and_b32 s98, s10, s27
	v_mul_lo_u32 v61, v21, s43
	s_and_b32 s83, s2, s5
	v_dual_cndmask_b32 v16, v17, v16, s3 :: v_dual_max_i32 v0, v46, v29
	v_cndmask_b32_e64 v17, v18, v24, s3
	s_and_b32 s84, s2, s8
	s_and_b32 s85, s2, s6
	s_delay_alu instid0(VALU_DEP_2)
	v_add_nc_u32_e32 v18, 1, v16
	v_mul_u64_e32 v[26:27], s[76:77], v[0:1]
	v_cmp_le_u32_e64 s3, s86, v17
	s_and_b32 s2, s83, s7
	v_add_nc_u32_e32 v20, v30, v61
	s_and_b32 s4, s85, s7
	v_dual_cndmask_b32 v16, v16, v18, s3 :: v_dual_add_nc_u32 v18, v30, v59
	s_delay_alu instid0(VALU_DEP_2) | instskip(SKIP_1) | instid1(VALU_DEP_2)
	v_ashrrev_i32_e32 v21, 31, v20
	s_and_b32 s3, s84, s7
	v_xor_b32_e32 v17, v16, v34
	v_add_nc_u32_e32 v16, v30, v58
	s_delay_alu instid0(VALU_DEP_1) | instskip(NEXT) | instid1(VALU_DEP_1)
	v_dual_sub_nc_u32 v63, v17, v34 :: v_dual_ashrrev_i32 v17, 31, v16
	v_dual_ashrrev_i32 v19, 31, v18 :: v_dual_bitop2_b32 v24, v31, v63 bitop3:0x54
	v_mul_lo_u32 v29, v63, s44
	v_mul_lo_u32 v31, v63, s42
	v_cmp_gt_i32_e64 s28, s41, v63
	s_delay_alu instid0(VALU_DEP_4)
	v_cmp_lt_i32_e64 s9, -1, v24
	s_and_b32 s12, s12, s9
	v_add_nc_u32_e32 v24, 1, v27
	v_or_b32_e32 v26, v28, v63
	v_or_b32_e32 v28, v32, v63
	v_mul_lo_u32 v32, v27, s88
	v_cmp_eq_u32_e64 s9, v29, v23
	v_add_nc_u32_e32 v23, v49, v31
	v_cmp_lt_i32_e64 s10, -1, v26
	v_add_nc_u32_e32 v26, v52, v31
	s_and_b32 s100, s12, s28
	s_and_b32 s64, s9, s5
	v_mul_lo_u32 v56, v23, s43
	s_and_b32 s10, s14, s10
	v_mul_lo_u32 v60, v26, s43
	s_and_b32 s101, s10, s28
	v_sub_nc_u32_e32 v0, v0, v32
	s_and_b32 s65, s9, s8
	s_and_b32 s66, s9, s6
	;; [unrolled: 1-line block ×3, first 2 shown]
	s_delay_alu instid0(VALU_DEP_1) | instskip(SKIP_1) | instid1(VALU_DEP_1)
	v_cmp_le_u32_e64 s10, s88, v0
	v_subrev_nc_u32_e32 v29, s88, v0
	v_dual_cndmask_b32 v24, v27, v24, s10 :: v_dual_cndmask_b32 v0, v0, v29, s10
	s_delay_alu instid0(VALU_DEP_1) | instskip(SKIP_2) | instid1(VALU_DEP_4)
	v_add_nc_u32_e32 v23, 1, v24
	v_cmp_lt_i32_e64 s11, -1, v28
	v_add_nc_u32_e32 v28, v5, v31
	v_cmp_le_u32_e64 s5, s88, v0
	v_dual_add_nc_u32 v22, v30, v56 :: v_dual_max_i32 v0, v64, v22
	s_and_b32 s11, s13, s11
	v_mul_lo_u32 v62, v28, s43
	v_dual_cndmask_b32 v23, v24, v23, s5 :: v_dual_add_nc_u32 v24, v30, v60
	s_delay_alu instid0(VALU_DEP_3) | instskip(SKIP_2) | instid1(VALU_DEP_2)
	v_mul_u64_e32 v[54:55], s[76:77], v[0:1]
	s_and_b32 s102, s11, s28
	s_and_b32 s5, s64, s7
	v_xor_b32_e32 v23, v23, v25
	s_and_b32 s7, s66, s7
	s_delay_alu instid0(VALU_DEP_1) | instskip(SKIP_1) | instid1(VALU_DEP_2)
	v_dual_add_nc_u32 v26, v30, v62 :: v_dual_sub_nc_u32 v29, v23, v25
	v_dual_ashrrev_i32 v23, 31, v22 :: v_dual_ashrrev_i32 v25, 31, v24
	v_dual_ashrrev_i32 v27, 31, v26 :: v_dual_bitop2_b32 v35, v29, v49 bitop3:0x54
	v_add_nc_u32_e32 v32, v29, v51
	v_mul_lo_u32 v54, v29, s46
	v_dual_add_nc_u32 v36, v29, v60 :: v_dual_add_nc_u32 v40, v29, v58
	s_delay_alu instid0(VALU_DEP_4) | instskip(SKIP_2) | instid1(VALU_DEP_4)
	v_or_b32_e32 v77, v35, v63
	v_cmp_gt_i32_e64 s8, s43, v29
	v_dual_add_nc_u32 v28, v29, v50 :: v_dual_bitop2_b32 v31, v29, v5 bitop3:0x54
	v_ashrrev_i32_e32 v37, 31, v36
	s_delay_alu instid0(VALU_DEP_4)
	v_cmp_lt_i32_e64 s11, -1, v77
	s_and_b32 s21, s8, s17
	v_dual_add_nc_u32 v34, v29, v56 :: v_dual_add_nc_u32 v38, v29, v62
	v_or_b32_e32 v65, v35, v47
	v_or_b32_e32 v76, v35, v57
	v_cmp_eq_u32_e64 s20, v54, v46
	s_and_b32 s56, s21, s11
	v_mul_lo_u32 v82, v55, s88
	v_dual_add_nc_u32 v83, 1, v55 :: v_dual_bitop2_b32 v33, v29, v52 bitop3:0x54
	v_dual_add_nc_u32 v30, v29, v53 :: v_dual_add_nc_u32 v42, v29, v59
	v_dual_add_nc_u32 v44, v29, v61 :: v_dual_ashrrev_i32 v29, 31, v28
	s_and_b32 s22, s8, s19
	s_and_b32 s23, s8, s18
	v_ashrrev_i32_e32 v35, 31, v34
	v_cmp_lt_i32_e64 s8, -1, v65
	v_sub_nc_u32_e32 v0, v0, v82
	v_cmp_lt_i32_e64 s14, -1, v76
	v_or_b32_e32 v74, v33, v47
	v_or_b32_e32 v75, v31, v47
	s_and_b32 s24, s21, s8
	v_subrev_nc_u32_e32 v46, s88, v0
	v_cmp_le_u32_e64 s11, s88, v0
	s_and_b32 s21, s21, s14
	v_dual_ashrrev_i32 v39, 31, v38 :: v_dual_bitop2_b32 v78, v33, v57 bitop3:0x54
	v_dual_ashrrev_i32 v41, 31, v40 :: v_dual_bitop2_b32 v79, v33, v63 bitop3:0x54
	v_dual_cndmask_b32 v54, v55, v83, s11 :: v_dual_cndmask_b32 v0, v0, v46, s11
	v_dual_ashrrev_i32 v43, 31, v42 :: v_dual_bitop2_b32 v80, v31, v63 bitop3:0x54
	v_dual_ashrrev_i32 v45, 31, v44 :: v_dual_bitop2_b32 v81, v31, v57 bitop3:0x54
	s_delay_alu instid0(VALU_DEP_3) | instskip(NEXT) | instid1(VALU_DEP_4)
	v_add_nc_u32_e32 v46, 1, v54
	v_cmp_le_u32_e64 s14, s88, v0
	v_dual_ashrrev_i32 v31, 31, v30 :: v_dual_ashrrev_i32 v33, 31, v32
	v_cmp_lt_i32_e64 s9, -1, v74
	v_cmp_lt_i32_e64 s10, -1, v75
	s_delay_alu instid0(VALU_DEP_4)
	v_cndmask_b32_e64 v0, v54, v46, s14
	v_cmp_lt_i32_e64 s12, -1, v79
	v_cmp_lt_i32_e64 s13, -1, v80
	;; [unrolled: 1-line block ×4, first 2 shown]
	v_xor_b32_e32 v0, v0, v48
	s_and_b32 s25, s22, s9
	s_and_b32 s29, s23, s10
	;; [unrolled: 1-line block ×4, first 2 shown]
	v_sub_nc_u32_e32 v0, v0, v48
	s_and_b32 s22, s22, s15
	s_and_b32 s23, s23, s16
	;; [unrolled: 1-line block ×4, first 2 shown]
	v_or_b32_e32 v49, v0, v49
	s_and_b32 s10, s61, s20
	s_and_b32 s11, s64, s20
	s_and_b32 s12, s65, s20
	s_and_b32 s13, s66, s20
	v_or_b32_e32 v75, v49, v47
	v_or_b32_e32 v5, v0, v5
	v_dual_add_nc_u32 v48, v0, v53 :: v_dual_bitop2_b32 v55, v0, v52 bitop3:0x54
	v_mul_lo_u32 v65, v0, s46
	s_and_b32 s14, s83, s20
	s_and_b32 s15, s84, s20
	;; [unrolled: 1-line block ×3, first 2 shown]
	v_cmp_gt_i32_e64 s20, s43, v0
	v_dual_add_nc_u32 v46, v0, v50 :: v_dual_add_nc_u32 v50, v0, v51
	v_dual_add_nc_u32 v52, v0, v56 :: v_dual_add_nc_u32 v56, v0, v62
	;; [unrolled: 1-line block ×4, first 2 shown]
	v_or_b32_e32 v0, v49, v57
	v_or_b32_e32 v74, v49, v63
	v_dual_ashrrev_i32 v49, 31, v48 :: v_dual_bitop2_b32 v76, v55, v57 bitop3:0x54
	v_dual_ashrrev_i32 v51, 31, v50 :: v_dual_bitop2_b32 v77, v55, v63 bitop3:0x54
	;; [unrolled: 1-line block ×6, first 2 shown]
	s_and_b32 s103, s24, s26
	s_and_b32 s104, s25, s26
	;; [unrolled: 1-line block ×9, first 2 shown]
	v_ashrrev_i32_e32 v47, 31, v46
	s_and_b32 s68, s20, s19
	s_and_b32 s69, s20, s18
	v_cmp_lt_i32_e64 s17, -1, v75
	v_cmp_lt_i32_e64 s18, -1, v78
	v_cmp_lt_i32_e64 s19, -1, v5
	v_cmp_lt_i32_e64 s20, -1, v74
	v_cmp_lt_i32_e64 s21, -1, v77
	v_cmp_lt_i32_e64 s22, -1, v80
	v_cmp_lt_i32_e64 s23, -1, v0
	v_cmp_lt_i32_e64 s24, -1, v76
	v_cmp_lt_i32_e64 s25, -1, v79
	s_and_b32 vcc_hi, s29, s26
	v_cmp_eq_u32_e64 s29, v65, v64
	v_dual_ashrrev_i32 v61, 31, v60 :: v_dual_ashrrev_i32 v63, 31, v62
	s_and_b32 s70, s67, s17
	s_and_b32 s71, s68, s18
	;; [unrolled: 1-line block ×27, first 2 shown]
	s_branch .LBB28_7
.LBB28_6:                               ;   in Loop: Header=BB28_7 Depth=2
	s_wait_xcnt 0x0
	s_or_b32 exec_lo, exec_lo, s26
	s_wait_loadcnt 0x1a
	v_lshlrev_b32_e32 v0, 16, v0
	v_add_nc_u64_e32 v[8:9], 54, v[8:9]
	s_wait_loadcnt 0x18
	v_dual_lshlrev_b32 v64, 16, v77 :: v_dual_add_nc_u32 v71, 1, v71
	v_add_nc_u32_e32 v4, s59, v4
	v_dual_fma_f32 v0, v5, v0, v73 :: v_dual_lshlrev_b32 v5, 16, v75
	s_delay_alu instid0(VALU_DEP_3) | instskip(NEXT) | instid1(VALU_DEP_2)
	v_cmp_ge_i32_e64 s26, v71, v72
	v_cndmask_b32_e32 v0, v73, v0, vcc_lo
	s_or_b32 s93, s26, s93
	s_delay_alu instid0(VALU_DEP_1) | instskip(NEXT) | instid1(VALU_DEP_1)
	v_fma_f32 v5, v76, v5, v0
	v_cndmask_b32_e64 v0, v0, v5, s8
	s_wait_loadcnt 0x17
	s_delay_alu instid0(VALU_DEP_1) | instskip(NEXT) | instid1(VALU_DEP_1)
	v_dual_fma_f32 v5, v74, v64, v0 :: v_dual_lshlrev_b32 v64, 16, v79
	v_cndmask_b32_e64 v0, v0, v5, s17
	s_wait_loadcnt 0x16
	s_delay_alu instid0(VALU_DEP_1) | instskip(NEXT) | instid1(VALU_DEP_1)
	v_dual_fma_f32 v5, v80, v64, v0 :: v_dual_lshlrev_b32 v64, 16, v81
	v_cndmask_b32_e64 v0, v0, v5, s1
	s_wait_loadcnt 0x15
	s_delay_alu instid0(VALU_DEP_1) | instskip(NEXT) | instid1(VALU_DEP_1)
	v_dual_fma_f32 v5, v78, v64, v0 :: v_dual_lshlrev_b32 v64, 16, v83
	v_cndmask_b32_e64 v0, v0, v5, s9
	s_wait_loadcnt 0x14
	s_delay_alu instid0(VALU_DEP_1) | instskip(NEXT) | instid1(VALU_DEP_1)
	v_dual_fma_f32 v5, v84, v64, v0 :: v_dual_lshlrev_b32 v64, 16, v85
	v_cndmask_b32_e64 v0, v0, v5, s18
	s_wait_loadcnt 0x13
	s_delay_alu instid0(VALU_DEP_1) | instskip(NEXT) | instid1(VALU_DEP_1)
	v_dual_fma_f32 v5, v82, v64, v0 :: v_dual_lshlrev_b32 v64, 16, v87
	v_cndmask_b32_e64 v0, v0, v5, s0
	s_wait_loadcnt 0x12
	s_delay_alu instid0(VALU_DEP_1) | instskip(NEXT) | instid1(VALU_DEP_1)
	v_dual_fma_f32 v5, v88, v64, v0 :: v_dual_lshlrev_b32 v64, 16, v89
	v_cndmask_b32_e64 v0, v0, v5, s10
	s_wait_loadcnt 0x11
	s_delay_alu instid0(VALU_DEP_1) | instskip(NEXT) | instid1(VALU_DEP_1)
	v_dual_fma_f32 v5, v86, v64, v0 :: v_dual_lshlrev_b32 v64, 16, v91
	v_cndmask_b32_e64 v0, v0, v5, s19
	s_wait_loadcnt 0x10
	s_delay_alu instid0(VALU_DEP_1) | instskip(NEXT) | instid1(VALU_DEP_1)
	v_dual_fma_f32 v5, v92, v64, v0 :: v_dual_lshlrev_b32 v64, 16, v93
	v_cndmask_b32_e64 v0, v0, v5, s5
	s_wait_loadcnt 0xf
	s_delay_alu instid0(VALU_DEP_1) | instskip(NEXT) | instid1(VALU_DEP_1)
	v_dual_fma_f32 v5, v90, v64, v0 :: v_dual_lshlrev_b32 v64, 16, v95
	v_cndmask_b32_e64 v0, v0, v5, s11
	s_wait_loadcnt 0xe
	s_delay_alu instid0(VALU_DEP_1) | instskip(NEXT) | instid1(VALU_DEP_1)
	v_dual_fma_f32 v5, v96, v64, v0 :: v_dual_lshlrev_b32 v64, 16, v97
	v_cndmask_b32_e64 v0, v0, v5, s20
	s_wait_loadcnt 0xd
	s_delay_alu instid0(VALU_DEP_1) | instskip(NEXT) | instid1(VALU_DEP_1)
	v_dual_fma_f32 v5, v94, v64, v0 :: v_dual_lshlrev_b32 v64, 16, v99
	v_cndmask_b32_e64 v0, v0, v5, s6
	s_wait_loadcnt 0xc
	s_delay_alu instid0(VALU_DEP_1) | instskip(NEXT) | instid1(VALU_DEP_1)
	v_dual_fma_f32 v5, v100, v64, v0 :: v_dual_lshlrev_b32 v64, 16, v101
	v_cndmask_b32_e64 v0, v0, v5, s12
	s_wait_loadcnt 0xb
	s_delay_alu instid0(VALU_DEP_1) | instskip(NEXT) | instid1(VALU_DEP_1)
	v_dual_fma_f32 v5, v98, v64, v0 :: v_dual_lshlrev_b32 v64, 16, v103
	v_cndmask_b32_e64 v0, v0, v5, s21
	s_wait_loadcnt 0xa
	s_delay_alu instid0(VALU_DEP_1) | instskip(NEXT) | instid1(VALU_DEP_1)
	v_dual_fma_f32 v5, v104, v64, v0 :: v_dual_lshlrev_b32 v64, 16, v105
	v_cndmask_b32_e64 v0, v0, v5, s7
	s_wait_loadcnt 0x9
	s_delay_alu instid0(VALU_DEP_1) | instskip(NEXT) | instid1(VALU_DEP_1)
	v_dual_fma_f32 v5, v102, v64, v0 :: v_dual_lshlrev_b32 v64, 16, v107
	v_cndmask_b32_e64 v0, v0, v5, s13
	s_wait_loadcnt 0x8
	s_delay_alu instid0(VALU_DEP_1) | instskip(NEXT) | instid1(VALU_DEP_1)
	v_dual_fma_f32 v5, v108, v64, v0 :: v_dual_lshlrev_b32 v64, 16, v109
	v_cndmask_b32_e64 v0, v0, v5, s22
	s_wait_loadcnt 0x7
	s_delay_alu instid0(VALU_DEP_1) | instskip(NEXT) | instid1(VALU_DEP_1)
	v_dual_fma_f32 v5, v106, v64, v0 :: v_dual_lshlrev_b32 v64, 16, v111
	v_cndmask_b32_e64 v0, v0, v5, s2
	s_wait_loadcnt 0x6
	s_delay_alu instid0(VALU_DEP_1) | instskip(NEXT) | instid1(VALU_DEP_1)
	v_dual_fma_f32 v5, v112, v64, v0 :: v_dual_lshlrev_b32 v64, 16, v113
	v_cndmask_b32_e64 v0, v0, v5, s14
	s_wait_loadcnt 0x5
	s_delay_alu instid0(VALU_DEP_1) | instskip(NEXT) | instid1(VALU_DEP_1)
	v_dual_fma_f32 v5, v110, v64, v0 :: v_dual_lshlrev_b32 v64, 16, v115
	v_cndmask_b32_e64 v0, v0, v5, s23
	s_wait_loadcnt 0x4
	s_delay_alu instid0(VALU_DEP_1) | instskip(NEXT) | instid1(VALU_DEP_1)
	v_dual_fma_f32 v5, v116, v64, v0 :: v_dual_lshlrev_b32 v64, 16, v117
	v_cndmask_b32_e64 v0, v0, v5, s3
	s_wait_loadcnt 0x3
	s_delay_alu instid0(VALU_DEP_1) | instskip(NEXT) | instid1(VALU_DEP_1)
	v_dual_fma_f32 v5, v114, v64, v0 :: v_dual_lshlrev_b32 v64, 16, v119
	v_cndmask_b32_e64 v0, v0, v5, s15
	s_wait_loadcnt 0x2
	s_delay_alu instid0(VALU_DEP_1) | instskip(NEXT) | instid1(VALU_DEP_1)
	v_dual_fma_f32 v5, v120, v64, v0 :: v_dual_lshlrev_b32 v64, 16, v121
	v_cndmask_b32_e64 v0, v0, v5, s24
	s_wait_loadcnt 0x1
	s_delay_alu instid0(VALU_DEP_1) | instskip(NEXT) | instid1(VALU_DEP_1)
	v_dual_fma_f32 v5, v118, v64, v0 :: v_dual_lshlrev_b32 v64, 16, v123
	v_cndmask_b32_e64 v0, v0, v5, s4
	s_wait_loadcnt 0x0
	s_delay_alu instid0(VALU_DEP_1) | instskip(NEXT) | instid1(VALU_DEP_1)
	v_dual_fma_f32 v5, v124, v64, v0 :: v_dual_lshlrev_b32 v64, 16, v125
	v_cndmask_b32_e64 v0, v0, v5, s16
	s_delay_alu instid0(VALU_DEP_1) | instskip(NEXT) | instid1(VALU_DEP_1)
	v_fma_f32 v5, v122, v64, v0
	v_cndmask_b32_e64 v73, v0, v5, s25
	s_and_not1_b32 exec_lo, exec_lo, s93
	s_cbranch_execz .LBB28_2
.LBB28_7:                               ;   Parent Loop BB28_4 Depth=1
                                        ; =>  This Inner Loop Header: Depth=2
	global_load_u16 v0, v[8:9], off
	v_ashrrev_i32_e32 v5, 31, v4
	s_delay_alu instid0(VALU_DEP_1)
	v_lshl_add_u64 v[64:65], v[4:5], 1, v[6:7]
	v_mov_b32_e32 v5, 0
	s_wait_xcnt 0x0
	s_and_saveexec_b32 s26, s94
	s_cbranch_execz .LBB28_9
; %bb.8:                                ;   in Loop: Header=BB28_7 Depth=2
	v_lshl_add_u64 v[74:75], v[10:11], 1, v[64:65]
	global_load_u16 v5, v[74:75], off
	s_wait_loadcnt 0x0
	v_lshlrev_b32_e32 v5, 16, v5
.LBB28_9:                               ;   in Loop: Header=BB28_7 Depth=2
	s_wait_xcnt 0x0
	s_or_b32 exec_lo, exec_lo, s26
	global_load_u16 v75, v[8:9], off offset:2
	v_dual_mov_b32 v74, 0 :: v_dual_mov_b32 v76, 0
	s_wait_xcnt 0x0
	s_and_saveexec_b32 s26, s103
	s_cbranch_execz .LBB28_11
; %bb.10:                               ;   in Loop: Header=BB28_7 Depth=2
	v_lshl_add_u64 v[76:77], v[28:29], 1, v[64:65]
	global_load_u16 v76, v[76:77], off
	s_wait_loadcnt 0x0
	s_wait_xcnt 0x0
	v_lshlrev_b32_e32 v76, 16, v76
.LBB28_11:                              ;   in Loop: Header=BB28_7 Depth=2
	s_or_b32 exec_lo, exec_lo, s26
	global_load_u16 v77, v[8:9], off offset:4
	s_wait_xcnt 0x0
	s_and_saveexec_b32 s26, s29
	s_cbranch_execz .LBB28_13
; %bb.12:                               ;   in Loop: Header=BB28_7 Depth=2
	v_lshl_add_u64 v[78:79], v[46:47], 1, v[64:65]
	global_load_u16 v74, v[78:79], off
	s_wait_loadcnt 0x0
	v_lshlrev_b32_e32 v74, 16, v74
.LBB28_13:                              ;   in Loop: Header=BB28_7 Depth=2
	s_wait_xcnt 0x0
	s_or_b32 exec_lo, exec_lo, s26
	global_load_u16 v79, v[8:9], off offset:6
	v_dual_mov_b32 v78, 0 :: v_dual_mov_b32 v80, 0
	s_wait_xcnt 0x0
	s_and_saveexec_b32 s26, s96
	s_cbranch_execz .LBB28_15
; %bb.14:                               ;   in Loop: Header=BB28_7 Depth=2
	v_lshl_add_u64 v[80:81], v[14:15], 1, v[64:65]
	global_load_u16 v80, v[80:81], off
	s_wait_loadcnt 0x0
	s_wait_xcnt 0x0
	v_lshlrev_b32_e32 v80, 16, v80
.LBB28_15:                              ;   in Loop: Header=BB28_7 Depth=2
	s_or_b32 exec_lo, exec_lo, s26
	global_load_u16 v81, v[8:9], off offset:8
	s_wait_xcnt 0x0
	s_and_saveexec_b32 s26, s104
	s_cbranch_execz .LBB28_17
; %bb.16:                               ;   in Loop: Header=BB28_7 Depth=2
	v_lshl_add_u64 v[82:83], v[30:31], 1, v[64:65]
	global_load_u16 v78, v[82:83], off
	s_wait_loadcnt 0x0
	v_lshlrev_b32_e32 v78, 16, v78
.LBB28_17:                              ;   in Loop: Header=BB28_7 Depth=2
	;; [unrolled: 25-line block ×3, first 2 shown]
	s_wait_xcnt 0x0
	s_or_b32 exec_lo, exec_lo, s26
	global_load_u16 v87, v[8:9], off offset:14
	v_dual_mov_b32 v86, 0 :: v_dual_mov_b32 v88, 0
	s_wait_xcnt 0x0
	s_and_saveexec_b32 s26, vcc_hi
	s_cbranch_execz .LBB28_23
; %bb.22:                               ;   in Loop: Header=BB28_7 Depth=2
	v_lshl_add_u64 v[88:89], v[32:33], 1, v[64:65]
	global_load_u16 v88, v[88:89], off
	s_wait_loadcnt 0x0
	s_wait_xcnt 0x0
	v_lshlrev_b32_e32 v88, 16, v88
.LBB28_23:                              ;   in Loop: Header=BB28_7 Depth=2
	s_or_b32 exec_lo, exec_lo, s26
	global_load_u16 v89, v[8:9], off offset:16
	s_wait_xcnt 0x0
	s_and_saveexec_b32 s26, s36
	s_cbranch_execz .LBB28_25
; %bb.24:                               ;   in Loop: Header=BB28_7 Depth=2
	v_lshl_add_u64 v[90:91], v[50:51], 1, v[64:65]
	global_load_u16 v86, v[90:91], off
	s_wait_loadcnt 0x0
	v_lshlrev_b32_e32 v86, 16, v86
.LBB28_25:                              ;   in Loop: Header=BB28_7 Depth=2
	s_wait_xcnt 0x0
	s_or_b32 exec_lo, exec_lo, s26
	global_load_u16 v91, v[8:9], off offset:18
	v_dual_mov_b32 v90, 0 :: v_dual_mov_b32 v92, 0
	s_wait_xcnt 0x0
	s_and_saveexec_b32 s26, s100
	s_cbranch_execz .LBB28_27
; %bb.26:                               ;   in Loop: Header=BB28_7 Depth=2
	v_lshl_add_u64 v[92:93], v[22:23], 1, v[64:65]
	global_load_u16 v92, v[92:93], off
	s_wait_loadcnt 0x0
	s_wait_xcnt 0x0
	v_lshlrev_b32_e32 v92, 16, v92
.LBB28_27:                              ;   in Loop: Header=BB28_7 Depth=2
	s_or_b32 exec_lo, exec_lo, s26
	global_load_u16 v93, v[8:9], off offset:20
	s_wait_xcnt 0x0
	s_and_saveexec_b32 s26, s78
	s_cbranch_execz .LBB28_29
; %bb.28:                               ;   in Loop: Header=BB28_7 Depth=2
	v_lshl_add_u64 v[94:95], v[34:35], 1, v[64:65]
	global_load_u16 v90, v[94:95], off
	s_wait_loadcnt 0x0
	v_lshlrev_b32_e32 v90, 16, v90
.LBB28_29:                              ;   in Loop: Header=BB28_7 Depth=2
	s_wait_xcnt 0x0
	s_or_b32 exec_lo, exec_lo, s26
	global_load_u16 v95, v[8:9], off offset:22
	v_dual_mov_b32 v94, 0 :: v_dual_mov_b32 v96, 0
	s_wait_xcnt 0x0
	s_and_saveexec_b32 s26, s79
	;; [unrolled: 25-line block ×9, first 2 shown]
	s_cbranch_execz .LBB28_59
; %bb.58:                               ;   in Loop: Header=BB28_7 Depth=2
	v_lshl_add_u64 v[124:125], v[44:45], 1, v[64:65]
	global_load_u16 v124, v[124:125], off
	s_wait_loadcnt 0x0
	s_wait_xcnt 0x0
	v_lshlrev_b32_e32 v124, 16, v124
.LBB28_59:                              ;   in Loop: Header=BB28_7 Depth=2
	s_or_b32 exec_lo, exec_lo, s26
	global_load_u16 v125, v[8:9], off offset:52
	s_wait_xcnt 0x0
	s_and_saveexec_b32 s26, s27
	s_cbranch_execz .LBB28_6
; %bb.60:                               ;   in Loop: Header=BB28_7 Depth=2
	v_lshl_add_u64 v[64:65], v[62:63], 1, v[64:65]
	global_load_u16 v64, v[64:65], off
	s_wait_loadcnt 0x0
	v_lshlrev_b32_e32 v122, 16, v64
	s_branch .LBB28_6
.LBB28_61:                              ;   in Loop: Header=BB28_4 Depth=1
	v_mov_b32_e32 v73, 0
	s_branch .LBB28_3
.LBB28_62:
	s_sendmsg sendmsg(MSG_DEALLOC_VGPRS)
	s_endpgm
	.section	.rodata,"a",@progbits
	.p2align	6, 0x0
	.amdhsa_kernel _ZN2at6native12_GLOBAL__N_143conv_depthwise3d_cuda_backward_input_kernelIN3c108BFloat16EfLi3ELi3ELi3ELi1ELi1ELi1ELin1ELin1ELin1EEEvN5torch10headeronly6detail27GenericPackedTensorAccessorINS7_14TensorAccessorINS3_8ArrayRefIlEEKT_Lm4ENS6_16DefaultPtrTraitsEiEENS_6detail16IndexBoundsCheckILm5EiEESD_Lm5ESE_iEENS8_INS9_ISB_SC_Lm4ESE_iEESI_SC_Lm5ESE_iEESJ_iiiiiiiii
		.amdhsa_group_segment_fixed_size 0
		.amdhsa_private_segment_fixed_size 0
		.amdhsa_kernarg_size 440
		.amdhsa_user_sgpr_count 2
		.amdhsa_user_sgpr_dispatch_ptr 0
		.amdhsa_user_sgpr_queue_ptr 0
		.amdhsa_user_sgpr_kernarg_segment_ptr 1
		.amdhsa_user_sgpr_dispatch_id 0
		.amdhsa_user_sgpr_kernarg_preload_length 0
		.amdhsa_user_sgpr_kernarg_preload_offset 0
		.amdhsa_user_sgpr_private_segment_size 0
		.amdhsa_wavefront_size32 1
		.amdhsa_uses_dynamic_stack 0
		.amdhsa_enable_private_segment 0
		.amdhsa_system_sgpr_workgroup_id_x 1
		.amdhsa_system_sgpr_workgroup_id_y 0
		.amdhsa_system_sgpr_workgroup_id_z 0
		.amdhsa_system_sgpr_workgroup_info 0
		.amdhsa_system_vgpr_workitem_id 0
		.amdhsa_next_free_vgpr 127
		.amdhsa_next_free_sgpr 105
		.amdhsa_named_barrier_count 0
		.amdhsa_reserve_vcc 1
		.amdhsa_float_round_mode_32 0
		.amdhsa_float_round_mode_16_64 0
		.amdhsa_float_denorm_mode_32 3
		.amdhsa_float_denorm_mode_16_64 3
		.amdhsa_fp16_overflow 0
		.amdhsa_memory_ordered 1
		.amdhsa_forward_progress 1
		.amdhsa_inst_pref_size 55
		.amdhsa_round_robin_scheduling 0
		.amdhsa_exception_fp_ieee_invalid_op 0
		.amdhsa_exception_fp_denorm_src 0
		.amdhsa_exception_fp_ieee_div_zero 0
		.amdhsa_exception_fp_ieee_overflow 0
		.amdhsa_exception_fp_ieee_underflow 0
		.amdhsa_exception_fp_ieee_inexact 0
		.amdhsa_exception_int_div_zero 0
	.end_amdhsa_kernel
	.section	.text._ZN2at6native12_GLOBAL__N_143conv_depthwise3d_cuda_backward_input_kernelIN3c108BFloat16EfLi3ELi3ELi3ELi1ELi1ELi1ELin1ELin1ELin1EEEvN5torch10headeronly6detail27GenericPackedTensorAccessorINS7_14TensorAccessorINS3_8ArrayRefIlEEKT_Lm4ENS6_16DefaultPtrTraitsEiEENS_6detail16IndexBoundsCheckILm5EiEESD_Lm5ESE_iEENS8_INS9_ISB_SC_Lm4ESE_iEESI_SC_Lm5ESE_iEESJ_iiiiiiiii,"axG",@progbits,_ZN2at6native12_GLOBAL__N_143conv_depthwise3d_cuda_backward_input_kernelIN3c108BFloat16EfLi3ELi3ELi3ELi1ELi1ELi1ELin1ELin1ELin1EEEvN5torch10headeronly6detail27GenericPackedTensorAccessorINS7_14TensorAccessorINS3_8ArrayRefIlEEKT_Lm4ENS6_16DefaultPtrTraitsEiEENS_6detail16IndexBoundsCheckILm5EiEESD_Lm5ESE_iEENS8_INS9_ISB_SC_Lm4ESE_iEESI_SC_Lm5ESE_iEESJ_iiiiiiiii,comdat
.Lfunc_end28:
	.size	_ZN2at6native12_GLOBAL__N_143conv_depthwise3d_cuda_backward_input_kernelIN3c108BFloat16EfLi3ELi3ELi3ELi1ELi1ELi1ELin1ELin1ELin1EEEvN5torch10headeronly6detail27GenericPackedTensorAccessorINS7_14TensorAccessorINS3_8ArrayRefIlEEKT_Lm4ENS6_16DefaultPtrTraitsEiEENS_6detail16IndexBoundsCheckILm5EiEESD_Lm5ESE_iEENS8_INS9_ISB_SC_Lm4ESE_iEESI_SC_Lm5ESE_iEESJ_iiiiiiiii, .Lfunc_end28-_ZN2at6native12_GLOBAL__N_143conv_depthwise3d_cuda_backward_input_kernelIN3c108BFloat16EfLi3ELi3ELi3ELi1ELi1ELi1ELin1ELin1ELin1EEEvN5torch10headeronly6detail27GenericPackedTensorAccessorINS7_14TensorAccessorINS3_8ArrayRefIlEEKT_Lm4ENS6_16DefaultPtrTraitsEiEENS_6detail16IndexBoundsCheckILm5EiEESD_Lm5ESE_iEENS8_INS9_ISB_SC_Lm4ESE_iEESI_SC_Lm5ESE_iEESJ_iiiiiiiii
                                        ; -- End function
	.set _ZN2at6native12_GLOBAL__N_143conv_depthwise3d_cuda_backward_input_kernelIN3c108BFloat16EfLi3ELi3ELi3ELi1ELi1ELi1ELin1ELin1ELin1EEEvN5torch10headeronly6detail27GenericPackedTensorAccessorINS7_14TensorAccessorINS3_8ArrayRefIlEEKT_Lm4ENS6_16DefaultPtrTraitsEiEENS_6detail16IndexBoundsCheckILm5EiEESD_Lm5ESE_iEENS8_INS9_ISB_SC_Lm4ESE_iEESI_SC_Lm5ESE_iEESJ_iiiiiiiii.num_vgpr, 127
	.set _ZN2at6native12_GLOBAL__N_143conv_depthwise3d_cuda_backward_input_kernelIN3c108BFloat16EfLi3ELi3ELi3ELi1ELi1ELi1ELin1ELin1ELin1EEEvN5torch10headeronly6detail27GenericPackedTensorAccessorINS7_14TensorAccessorINS3_8ArrayRefIlEEKT_Lm4ENS6_16DefaultPtrTraitsEiEENS_6detail16IndexBoundsCheckILm5EiEESD_Lm5ESE_iEENS8_INS9_ISB_SC_Lm4ESE_iEESI_SC_Lm5ESE_iEESJ_iiiiiiiii.num_agpr, 0
	.set _ZN2at6native12_GLOBAL__N_143conv_depthwise3d_cuda_backward_input_kernelIN3c108BFloat16EfLi3ELi3ELi3ELi1ELi1ELi1ELin1ELin1ELin1EEEvN5torch10headeronly6detail27GenericPackedTensorAccessorINS7_14TensorAccessorINS3_8ArrayRefIlEEKT_Lm4ENS6_16DefaultPtrTraitsEiEENS_6detail16IndexBoundsCheckILm5EiEESD_Lm5ESE_iEENS8_INS9_ISB_SC_Lm4ESE_iEESI_SC_Lm5ESE_iEESJ_iiiiiiiii.numbered_sgpr, 105
	.set _ZN2at6native12_GLOBAL__N_143conv_depthwise3d_cuda_backward_input_kernelIN3c108BFloat16EfLi3ELi3ELi3ELi1ELi1ELi1ELin1ELin1ELin1EEEvN5torch10headeronly6detail27GenericPackedTensorAccessorINS7_14TensorAccessorINS3_8ArrayRefIlEEKT_Lm4ENS6_16DefaultPtrTraitsEiEENS_6detail16IndexBoundsCheckILm5EiEESD_Lm5ESE_iEENS8_INS9_ISB_SC_Lm4ESE_iEESI_SC_Lm5ESE_iEESJ_iiiiiiiii.num_named_barrier, 0
	.set _ZN2at6native12_GLOBAL__N_143conv_depthwise3d_cuda_backward_input_kernelIN3c108BFloat16EfLi3ELi3ELi3ELi1ELi1ELi1ELin1ELin1ELin1EEEvN5torch10headeronly6detail27GenericPackedTensorAccessorINS7_14TensorAccessorINS3_8ArrayRefIlEEKT_Lm4ENS6_16DefaultPtrTraitsEiEENS_6detail16IndexBoundsCheckILm5EiEESD_Lm5ESE_iEENS8_INS9_ISB_SC_Lm4ESE_iEESI_SC_Lm5ESE_iEESJ_iiiiiiiii.private_seg_size, 0
	.set _ZN2at6native12_GLOBAL__N_143conv_depthwise3d_cuda_backward_input_kernelIN3c108BFloat16EfLi3ELi3ELi3ELi1ELi1ELi1ELin1ELin1ELin1EEEvN5torch10headeronly6detail27GenericPackedTensorAccessorINS7_14TensorAccessorINS3_8ArrayRefIlEEKT_Lm4ENS6_16DefaultPtrTraitsEiEENS_6detail16IndexBoundsCheckILm5EiEESD_Lm5ESE_iEENS8_INS9_ISB_SC_Lm4ESE_iEESI_SC_Lm5ESE_iEESJ_iiiiiiiii.uses_vcc, 1
	.set _ZN2at6native12_GLOBAL__N_143conv_depthwise3d_cuda_backward_input_kernelIN3c108BFloat16EfLi3ELi3ELi3ELi1ELi1ELi1ELin1ELin1ELin1EEEvN5torch10headeronly6detail27GenericPackedTensorAccessorINS7_14TensorAccessorINS3_8ArrayRefIlEEKT_Lm4ENS6_16DefaultPtrTraitsEiEENS_6detail16IndexBoundsCheckILm5EiEESD_Lm5ESE_iEENS8_INS9_ISB_SC_Lm4ESE_iEESI_SC_Lm5ESE_iEESJ_iiiiiiiii.uses_flat_scratch, 0
	.set _ZN2at6native12_GLOBAL__N_143conv_depthwise3d_cuda_backward_input_kernelIN3c108BFloat16EfLi3ELi3ELi3ELi1ELi1ELi1ELin1ELin1ELin1EEEvN5torch10headeronly6detail27GenericPackedTensorAccessorINS7_14TensorAccessorINS3_8ArrayRefIlEEKT_Lm4ENS6_16DefaultPtrTraitsEiEENS_6detail16IndexBoundsCheckILm5EiEESD_Lm5ESE_iEENS8_INS9_ISB_SC_Lm4ESE_iEESI_SC_Lm5ESE_iEESJ_iiiiiiiii.has_dyn_sized_stack, 0
	.set _ZN2at6native12_GLOBAL__N_143conv_depthwise3d_cuda_backward_input_kernelIN3c108BFloat16EfLi3ELi3ELi3ELi1ELi1ELi1ELin1ELin1ELin1EEEvN5torch10headeronly6detail27GenericPackedTensorAccessorINS7_14TensorAccessorINS3_8ArrayRefIlEEKT_Lm4ENS6_16DefaultPtrTraitsEiEENS_6detail16IndexBoundsCheckILm5EiEESD_Lm5ESE_iEENS8_INS9_ISB_SC_Lm4ESE_iEESI_SC_Lm5ESE_iEESJ_iiiiiiiii.has_recursion, 0
	.set _ZN2at6native12_GLOBAL__N_143conv_depthwise3d_cuda_backward_input_kernelIN3c108BFloat16EfLi3ELi3ELi3ELi1ELi1ELi1ELin1ELin1ELin1EEEvN5torch10headeronly6detail27GenericPackedTensorAccessorINS7_14TensorAccessorINS3_8ArrayRefIlEEKT_Lm4ENS6_16DefaultPtrTraitsEiEENS_6detail16IndexBoundsCheckILm5EiEESD_Lm5ESE_iEENS8_INS9_ISB_SC_Lm4ESE_iEESI_SC_Lm5ESE_iEESJ_iiiiiiiii.has_indirect_call, 0
	.section	.AMDGPU.csdata,"",@progbits
; Kernel info:
; codeLenInByte = 7008
; TotalNumSgprs: 107
; NumVgprs: 127
; ScratchSize: 0
; MemoryBound: 0
; FloatMode: 240
; IeeeMode: 1
; LDSByteSize: 0 bytes/workgroup (compile time only)
; SGPRBlocks: 0
; VGPRBlocks: 7
; NumSGPRsForWavesPerEU: 107
; NumVGPRsForWavesPerEU: 127
; NamedBarCnt: 0
; Occupancy: 8
; WaveLimiterHint : 0
; COMPUTE_PGM_RSRC2:SCRATCH_EN: 0
; COMPUTE_PGM_RSRC2:USER_SGPR: 2
; COMPUTE_PGM_RSRC2:TRAP_HANDLER: 0
; COMPUTE_PGM_RSRC2:TGID_X_EN: 1
; COMPUTE_PGM_RSRC2:TGID_Y_EN: 0
; COMPUTE_PGM_RSRC2:TGID_Z_EN: 0
; COMPUTE_PGM_RSRC2:TIDIG_COMP_CNT: 0
	.section	.text._ZN2at6native12_GLOBAL__N_143conv_depthwise3d_cuda_backward_input_kernelIN3c108BFloat16EfLi3ELi3ELi3ELin1ELin1ELin1ELi1ELi1ELi1EEEvN5torch10headeronly6detail27GenericPackedTensorAccessorINS7_14TensorAccessorINS3_8ArrayRefIlEEKT_Lm4ENS6_16DefaultPtrTraitsEiEENS_6detail16IndexBoundsCheckILm5EiEESD_Lm5ESE_iEENS8_INS9_ISB_SC_Lm4ESE_iEESI_SC_Lm5ESE_iEESJ_iiiiiiiii,"axG",@progbits,_ZN2at6native12_GLOBAL__N_143conv_depthwise3d_cuda_backward_input_kernelIN3c108BFloat16EfLi3ELi3ELi3ELin1ELin1ELin1ELi1ELi1ELi1EEEvN5torch10headeronly6detail27GenericPackedTensorAccessorINS7_14TensorAccessorINS3_8ArrayRefIlEEKT_Lm4ENS6_16DefaultPtrTraitsEiEENS_6detail16IndexBoundsCheckILm5EiEESD_Lm5ESE_iEENS8_INS9_ISB_SC_Lm4ESE_iEESI_SC_Lm5ESE_iEESJ_iiiiiiiii,comdat
	.globl	_ZN2at6native12_GLOBAL__N_143conv_depthwise3d_cuda_backward_input_kernelIN3c108BFloat16EfLi3ELi3ELi3ELin1ELin1ELin1ELi1ELi1ELi1EEEvN5torch10headeronly6detail27GenericPackedTensorAccessorINS7_14TensorAccessorINS3_8ArrayRefIlEEKT_Lm4ENS6_16DefaultPtrTraitsEiEENS_6detail16IndexBoundsCheckILm5EiEESD_Lm5ESE_iEENS8_INS9_ISB_SC_Lm4ESE_iEESI_SC_Lm5ESE_iEESJ_iiiiiiiii ; -- Begin function _ZN2at6native12_GLOBAL__N_143conv_depthwise3d_cuda_backward_input_kernelIN3c108BFloat16EfLi3ELi3ELi3ELin1ELin1ELin1ELi1ELi1ELi1EEEvN5torch10headeronly6detail27GenericPackedTensorAccessorINS7_14TensorAccessorINS3_8ArrayRefIlEEKT_Lm4ENS6_16DefaultPtrTraitsEiEENS_6detail16IndexBoundsCheckILm5EiEESD_Lm5ESE_iEENS8_INS9_ISB_SC_Lm4ESE_iEESI_SC_Lm5ESE_iEESJ_iiiiiiiii
	.p2align	8
	.type	_ZN2at6native12_GLOBAL__N_143conv_depthwise3d_cuda_backward_input_kernelIN3c108BFloat16EfLi3ELi3ELi3ELin1ELin1ELin1ELi1ELi1ELi1EEEvN5torch10headeronly6detail27GenericPackedTensorAccessorINS7_14TensorAccessorINS3_8ArrayRefIlEEKT_Lm4ENS6_16DefaultPtrTraitsEiEENS_6detail16IndexBoundsCheckILm5EiEESD_Lm5ESE_iEENS8_INS9_ISB_SC_Lm4ESE_iEESI_SC_Lm5ESE_iEESJ_iiiiiiiii,@function
_ZN2at6native12_GLOBAL__N_143conv_depthwise3d_cuda_backward_input_kernelIN3c108BFloat16EfLi3ELi3ELi3ELin1ELin1ELin1ELi1ELi1ELi1EEEvN5torch10headeronly6detail27GenericPackedTensorAccessorINS7_14TensorAccessorINS3_8ArrayRefIlEEKT_Lm4ENS6_16DefaultPtrTraitsEiEENS_6detail16IndexBoundsCheckILm5EiEESD_Lm5ESE_iEENS8_INS9_ISB_SC_Lm4ESE_iEESI_SC_Lm5ESE_iEESJ_iiiiiiiii: ; @_ZN2at6native12_GLOBAL__N_143conv_depthwise3d_cuda_backward_input_kernelIN3c108BFloat16EfLi3ELi3ELi3ELin1ELin1ELin1ELi1ELi1ELi1EEEvN5torch10headeronly6detail27GenericPackedTensorAccessorINS7_14TensorAccessorINS3_8ArrayRefIlEEKT_Lm4ENS6_16DefaultPtrTraitsEiEENS_6detail16IndexBoundsCheckILm5EiEESD_Lm5ESE_iEENS8_INS9_ISB_SC_Lm4ESE_iEESI_SC_Lm5ESE_iEESJ_iiiiiiiii
; %bb.0:
	s_clause 0x1
	s_load_b128 s[4:7], s[0:1], 0x38
	s_load_b32 s2, s[0:1], 0xc4
	s_bfe_u32 s3, ttmp6, 0x4000c
	s_load_b64 s[20:21], s[0:1], 0x48
	s_add_co_i32 s3, s3, 1
	s_and_b32 s8, ttmp6, 15
	s_mul_i32 s3, ttmp9, s3
	s_getreg_b32 s9, hwreg(HW_REG_IB_STS2, 6, 4)
	v_mov_b32_e32 v1, 0
	s_add_co_i32 s8, s8, s3
	s_mov_b32 s25, 0
	s_wait_kmcnt 0x0
	s_abs_i32 s33, s5
	s_and_b32 s2, s2, 0xffff
	s_cmp_eq_u32 s9, 0
	s_mul_i32 s22, s21, s4
	s_cselect_b32 s3, ttmp9, s8
	s_ashr_i32 s23, s22, 31
	v_mad_nc_u64_u32 v[2:3], s2, s3, v[0:1]
	s_cvt_f32_u32 s3, s33
	s_mov_b32 s4, exec_lo
	s_delay_alu instid0(SALU_CYCLE_2) | instskip(SKIP_1) | instid1(TRANS32_DEP_1)
	v_rcp_iflag_f32_e32 v0, s3
	v_nop
	v_readfirstlane_b32 s3, v0
	s_delay_alu instid0(VALU_DEP_3)
	v_cmpx_gt_i64_e64 s[22:23], v[2:3]
	s_cbranch_execz .LBB29_62
; %bb.1:
	s_clause 0x1
	s_load_b128 s[8:11], s[0:1], 0xc
	s_load_b64 s[28:29], s[0:1], 0x0
	s_mul_f32 s3, s3, 0x4f7ffffe
	s_sub_co_i32 s4, 0, s33
	s_mov_b32 s17, s25
	s_ashr_i32 s46, s5, 31
	s_cvt_u32_f32 s3, s3
	s_add_nc_u64 s[18:19], s[0:1], 0xb8
	s_clause 0x4
	s_load_b64 s[26:27], s[0:1], 0xac
	s_load_b128 s[12:15], s[0:1], 0x9c
	s_load_b32 s47, s[0:1], 0x7c
	s_load_b64 s[30:31], s[0:1], 0x1c
	s_load_b64 s[34:35], s[0:1], 0x30
	s_mul_i32 s16, s4, s3
	s_load_b32 s38, s[18:19], 0x0
	s_mul_hi_u32 s16, s3, s16
	s_mov_b32 s41, s25
	s_add_co_i32 s16, s3, s16
	v_readfirstlane_b32 s3, v0
	s_mov_b32 s43, s25
	s_mov_b32 s45, s25
	;; [unrolled: 1-line block ×3, first 2 shown]
	s_wait_kmcnt 0x0
	s_abs_i32 s24, s8
	s_ashr_i32 s8, s8, 31
	s_mul_u64 s[16:17], s[24:25], s[16:17]
	s_xor_b32 s8, s8, s46
	s_mul_i32 s16, s17, s33
	s_delay_alu instid0(SALU_CYCLE_1)
	s_sub_co_i32 s16, s24, s16
	s_add_co_i32 s24, s17, 1
	s_sub_co_i32 s36, s16, s33
	s_cmp_ge_u32 s16, s33
	s_cselect_b32 s24, s24, s17
	s_cselect_b32 s16, s36, s16
	s_add_co_i32 s39, s24, 1
	s_cmp_ge_u32 s16, s33
	s_clause 0x1
	s_load_b64 s[36:37], s[0:1], 0x60
	s_load_b128 s[16:19], s[0:1], 0x50
	s_wait_xcnt 0x0
	s_cselect_b32 s0, s39, s24
	s_mul_f32 s1, s3, 0x4f7ffffe
	s_xor_b32 s0, s0, s8
	s_mul_i32 s24, s38, s2
	s_sub_co_i32 s8, s0, s8
	s_cvt_u32_f32 s0, s1
	s_cmp_gt_i32 s8, 0
	s_mov_b32 s39, s25
	s_cselect_b32 s48, -1, 0
	s_abs_i32 s49, s20
	s_abs_i32 s51, s6
	s_cvt_f32_u32 s1, s49
	s_abs_i32 s50, s7
	s_cvt_f32_u32 s2, s51
	s_cvt_f32_u32 s3, s50
	v_rcp_iflag_f32_e32 v0, s1
	s_sub_co_i32 s38, 0, s49
	v_rcp_iflag_f32_e32 v5, s2
	v_rcp_iflag_f32_e32 v4, s3
	s_sub_co_i32 s42, 0, s51
	s_sub_co_i32 s40, 0, s50
	s_mul_i32 s4, s4, s0
	v_readfirstlane_b32 s1, v0
	s_lshl_b32 s52, s27, 1
	v_readfirstlane_b32 s3, v5
	v_readfirstlane_b32 s2, v4
	s_lshl_b32 s53, s26, 1
	s_mul_f32 s1, s1, 0x4f7ffffe
	s_lshl_b32 s54, s15, 1
	s_mul_f32 s3, s3, 0x4f7ffffe
	s_mul_f32 s2, s2, 0x4f7ffffe
	s_cvt_u32_f32 s1, s1
	s_ashr_i32 s55, s20, 31
	s_cvt_u32_f32 s3, s3
	s_cvt_u32_f32 s2, s2
	s_mul_i32 s38, s38, s1
	s_ashr_i32 s56, s7, 31
	s_mul_hi_u32 s38, s1, s38
	s_mul_i32 s42, s42, s3
	s_mul_i32 s40, s40, s2
	s_add_co_i32 s38, s1, s38
	s_mul_hi_u32 s1, s3, s42
	s_mul_hi_u32 s40, s2, s40
	s_add_co_i32 s42, s3, s1
	s_mul_hi_u32 s1, s0, s4
	s_add_co_i32 s40, s2, s40
	s_ashr_i32 s57, s6, 31
	s_add_co_i32 s44, s0, s1
	s_mul_i32 s58, s31, s8
	s_branch .LBB29_4
.LBB29_2:                               ;   in Loop: Header=BB29_4 Depth=1
	s_or_b32 exec_lo, exec_lo, s0
.LBB29_3:                               ;   in Loop: Header=BB29_4 Depth=1
	v_mul_lo_u32 v4, v68, s21
	s_wait_kmcnt 0x0
	v_mul_lo_u32 v6, s16, v69
	v_mul_lo_u32 v8, s17, v67
	;; [unrolled: 1-line block ×4, first 2 shown]
	v_bfe_u32 v11, v71, 16, 1
	v_add_nc_u64_e32 v[2:3], s[24:25], v[2:3]
	v_cmp_o_f32_e64 s0, v71, v71
	s_delay_alu instid0(VALU_DEP_3) | instskip(SKIP_2) | instid1(VALU_DEP_3)
	v_add3_u32 v0, v71, v11, 0x7fff
	v_dual_ashrrev_i32 v5, 31, v4 :: v_dual_ashrrev_i32 v7, 31, v6
	v_dual_ashrrev_i32 v9, 31, v8 :: v_dual_ashrrev_i32 v11, 31, v10
	v_lshrrev_b32_e32 v0, 16, v0
	s_delay_alu instid0(VALU_DEP_3) | instskip(SKIP_2) | instid1(VALU_DEP_4)
	v_lshl_add_u64 v[4:5], v[4:5], 1, s[34:35]
	v_ashrrev_i32_e32 v13, 31, v12
	v_cmp_le_i64_e32 vcc_lo, s[22:23], v[2:3]
	v_cndmask_b32_e64 v0, 0x7fc0, v0, s0
	s_delay_alu instid0(VALU_DEP_4) | instskip(SKIP_1) | instid1(VALU_DEP_1)
	v_lshl_add_u64 v[4:5], v[6:7], 1, v[4:5]
	s_or_b32 s59, vcc_lo, s59
	v_lshl_add_u64 v[4:5], v[8:9], 1, v[4:5]
	s_delay_alu instid0(VALU_DEP_1) | instskip(NEXT) | instid1(VALU_DEP_1)
	v_lshl_add_u64 v[4:5], v[10:11], 1, v[4:5]
	v_lshl_add_u64 v[4:5], v[12:13], 1, v[4:5]
	global_store_b16 v[4:5], v0, off
	s_wait_xcnt 0x0
	s_and_not1_b32 exec_lo, exec_lo, s59
	s_cbranch_execz .LBB29_62
.LBB29_4:                               ; =>This Loop Header: Depth=1
                                        ;     Child Loop BB29_7 Depth 2
	v_sub_nc_u32_e32 v0, 0, v2
	s_delay_alu instid0(VALU_DEP_1) | instskip(NEXT) | instid1(VALU_DEP_1)
	v_max_i32_e32 v0, v2, v0
	v_mul_u64_e32 v[4:5], s[38:39], v[0:1]
	s_delay_alu instid0(VALU_DEP_1) | instskip(NEXT) | instid1(VALU_DEP_1)
	v_mul_lo_u32 v4, v5, s49
	v_dual_sub_nc_u32 v0, v0, v4 :: v_dual_add_nc_u32 v4, 1, v5
	s_delay_alu instid0(VALU_DEP_1) | instskip(NEXT) | instid1(VALU_DEP_2)
	v_cmp_le_u32_e32 vcc_lo, s49, v0
	v_cndmask_b32_e32 v4, v5, v4, vcc_lo
	v_subrev_nc_u32_e32 v6, s49, v0
	v_ashrrev_i32_e32 v5, 31, v2
	s_delay_alu instid0(VALU_DEP_2) | instskip(NEXT) | instid1(VALU_DEP_1)
	v_dual_cndmask_b32 v0, v0, v6, vcc_lo :: v_dual_add_nc_u32 v6, 1, v4
	v_cmp_le_u32_e32 vcc_lo, s49, v0
	s_delay_alu instid0(VALU_DEP_2) | instskip(NEXT) | instid1(VALU_DEP_1)
	v_dual_cndmask_b32 v0, v4, v6, vcc_lo :: v_dual_bitop2_b32 v5, s55, v5 bitop3:0x14
	v_xor_b32_e32 v0, v0, v5
	s_delay_alu instid0(VALU_DEP_1) | instskip(NEXT) | instid1(VALU_DEP_1)
	v_sub_nc_u32_e32 v6, v0, v5
	v_sub_nc_u32_e32 v0, 0, v6
	s_delay_alu instid0(VALU_DEP_1) | instskip(NEXT) | instid1(VALU_DEP_1)
	v_max_i32_e32 v0, v6, v0
	v_mul_u64_e32 v[4:5], s[40:41], v[0:1]
	s_delay_alu instid0(VALU_DEP_1) | instskip(NEXT) | instid1(VALU_DEP_1)
	v_mul_lo_u32 v4, v5, s50
	v_dual_sub_nc_u32 v0, v0, v4 :: v_dual_add_nc_u32 v4, 1, v5
	s_delay_alu instid0(VALU_DEP_1) | instskip(SKIP_1) | instid1(VALU_DEP_2)
	v_subrev_nc_u32_e32 v7, s50, v0
	v_cmp_le_u32_e32 vcc_lo, s50, v0
	v_dual_cndmask_b32 v4, v5, v4, vcc_lo :: v_dual_cndmask_b32 v0, v0, v7, vcc_lo
	s_delay_alu instid0(VALU_DEP_1) | instskip(NEXT) | instid1(VALU_DEP_2)
	v_dual_ashrrev_i32 v5, 31, v6 :: v_dual_add_nc_u32 v7, 1, v4
	v_cmp_le_u32_e32 vcc_lo, s50, v0
	s_delay_alu instid0(VALU_DEP_2) | instskip(NEXT) | instid1(VALU_DEP_1)
	v_dual_cndmask_b32 v0, v4, v7, vcc_lo :: v_dual_bitop2_b32 v5, s56, v5 bitop3:0x14
	v_xor_b32_e32 v0, v0, v5
	s_delay_alu instid0(VALU_DEP_1) | instskip(NEXT) | instid1(VALU_DEP_1)
	v_sub_nc_u32_e32 v7, v0, v5
	v_sub_nc_u32_e32 v0, 0, v7
	s_delay_alu instid0(VALU_DEP_1) | instskip(NEXT) | instid1(VALU_DEP_1)
	v_max_i32_e32 v0, v7, v0
	v_mul_u64_e32 v[4:5], s[42:43], v[0:1]
	s_delay_alu instid0(VALU_DEP_1) | instskip(NEXT) | instid1(VALU_DEP_1)
	v_mul_lo_u32 v4, v5, s51
	v_dual_sub_nc_u32 v0, v0, v4 :: v_dual_add_nc_u32 v4, 1, v5
	s_delay_alu instid0(VALU_DEP_1) | instskip(SKIP_1) | instid1(VALU_DEP_3)
	v_subrev_nc_u32_e32 v8, s51, v0
	v_cmp_le_u32_e32 vcc_lo, s51, v0
	v_dual_cndmask_b32 v4, v5, v4 :: v_dual_ashrrev_i32 v5, 31, v7
	s_delay_alu instid0(VALU_DEP_1) | instskip(NEXT) | instid1(VALU_DEP_2)
	v_dual_cndmask_b32 v0, v0, v8, vcc_lo :: v_dual_bitop2_b32 v5, s57, v5 bitop3:0x14
	v_add_nc_u32_e32 v8, 1, v4
	s_delay_alu instid0(VALU_DEP_2) | instskip(NEXT) | instid1(VALU_DEP_2)
	v_cmp_le_u32_e32 vcc_lo, s51, v0
	v_cndmask_b32_e32 v0, v4, v8, vcc_lo
	s_delay_alu instid0(VALU_DEP_1) | instskip(NEXT) | instid1(VALU_DEP_1)
	v_xor_b32_e32 v0, v0, v5
	v_sub_nc_u32_e32 v8, v0, v5
	s_delay_alu instid0(VALU_DEP_1) | instskip(NEXT) | instid1(VALU_DEP_1)
	v_sub_nc_u32_e32 v0, 0, v8
	v_max_i32_e32 v0, v8, v0
	s_delay_alu instid0(VALU_DEP_1) | instskip(NEXT) | instid1(VALU_DEP_1)
	v_mul_u64_e32 v[4:5], s[44:45], v[0:1]
	v_mul_lo_u32 v4, v5, s33
	s_delay_alu instid0(VALU_DEP_1) | instskip(NEXT) | instid1(VALU_DEP_1)
	v_dual_sub_nc_u32 v0, v0, v4 :: v_dual_add_nc_u32 v4, 1, v5
	v_subrev_nc_u32_e32 v9, s33, v0
	v_cmp_le_u32_e32 vcc_lo, s33, v0
	s_delay_alu instid0(VALU_DEP_2) | instskip(SKIP_1) | instid1(VALU_DEP_2)
	v_dual_cndmask_b32 v4, v5, v4, vcc_lo :: v_dual_cndmask_b32 v0, v0, v9, vcc_lo
	v_ashrrev_i32_e32 v5, 31, v8
	v_add_nc_u32_e32 v9, 1, v4
	s_delay_alu instid0(VALU_DEP_3) | instskip(NEXT) | instid1(VALU_DEP_3)
	v_cmp_le_u32_e32 vcc_lo, s33, v0
	v_xor_b32_e32 v5, s46, v5
	s_delay_alu instid0(VALU_DEP_3) | instskip(SKIP_2) | instid1(VALU_DEP_1)
	v_cndmask_b32_e32 v0, v4, v9, vcc_lo
	v_mul_lo_u32 v4, v7, s7
	s_and_not1_b32 vcc_lo, exec_lo, s48
	v_dual_sub_nc_u32 v66, v6, v4 :: v_dual_bitop2_b32 v0, v0, v5 bitop3:0x14
	s_delay_alu instid0(VALU_DEP_1) | instskip(SKIP_2) | instid1(VALU_DEP_2)
	v_sub_nc_u32_e32 v68, v0, v5
	v_mul_lo_u32 v0, v6, s20
	v_mul_lo_u32 v5, v8, s6
	v_sub_nc_u32_e32 v0, v2, v0
	s_delay_alu instid0(VALU_DEP_4) | instskip(NEXT) | instid1(VALU_DEP_3)
	v_mul_lo_u32 v9, v68, s5
	v_sub_nc_u32_e32 v67, v7, v5
	s_delay_alu instid0(VALU_DEP_2)
	v_sub_nc_u32_e32 v69, v8, v9
	s_cbranch_vccnz .LBB29_61
; %bb.5:                                ;   in Loop: Header=BB29_4 Depth=1
	s_delay_alu instid0(VALU_DEP_2) | instskip(NEXT) | instid1(VALU_DEP_2)
	v_dual_add_nc_u32 v23, s12, v67 :: v_dual_add_nc_u32 v40, s13, v66
	v_mul_lo_u32 v70, v69, s8
	v_mul_lo_u32 v6, s30, v68
	;; [unrolled: 1-line block ×3, first 2 shown]
	s_delay_alu instid0(VALU_DEP_4)
	v_mul_lo_u32 v18, v23, s10
	v_add_nc_u32_e32 v55, s14, v0
	v_subrev_nc_u32_e32 v41, s54, v23
	v_subrev_nc_u32_e32 v25, s15, v23
	;; [unrolled: 1-line block ×4, first 2 shown]
	v_cmp_gt_i32_e64 s0, s10, v40
	v_cmp_gt_i32_e32 vcc_lo, s9, v23
	v_mul_lo_u32 v8, s47, v70
	v_mul_lo_u32 v34, v25, s10
	;; [unrolled: 1-line block ×3, first 2 shown]
	v_dual_add_nc_u32 v5, v40, v18 :: v_dual_bitop2_b32 v4, v55, v40 bitop3:0x54
	v_ashrrev_i32_e32 v7, 31, v6
	v_subrev_nc_u32_e32 v58, s27, v55
	v_cmp_gt_i32_e64 s1, s11, v55
	s_delay_alu instid0(VALU_DEP_4)
	v_mul_lo_u32 v12, v5, s11
	v_or_b32_e32 v42, v4, v41
	v_or_b32_e32 v24, v4, v25
	;; [unrolled: 1-line block ×4, first 2 shown]
	v_dual_add_nc_u32 v16, v44, v18 :: v_dual_bitop2_b32 v15, v55, v44 bitop3:0x54
	v_subrev_nc_u32_e32 v59, s52, v55
	s_delay_alu instid0(VALU_DEP_4)
	v_cmp_lt_i32_e64 s3, -1, v4
	v_add_nc_u32_e32 v18, v48, v18
	s_and_b32 s78, s1, s0
	v_add_nc_u32_e32 v4, v55, v12
	v_or_b32_e32 v10, v11, v23
	v_cmp_gt_i32_e64 s2, s11, v58
	s_and_b32 s3, s78, s3
	v_mul_lo_u32 v31, v18, s11
	v_or_b32_e32 v13, v59, v40
	s_and_b32 s60, s3, vcc_lo
	v_ashrrev_i32_e32 v5, 31, v4
	v_cmp_lt_i32_e64 s3, -1, v10
	v_mul_lo_u32 v20, v16, s11
	s_and_b32 s79, s2, s0
	v_dual_add_nc_u32 v10, v58, v12 :: v_dual_bitop2_b32 v14, v13, v23 bitop3:0x54
	s_and_b32 s3, s79, s3
	v_add_nc_u32_e32 v12, v59, v12
	s_and_b32 s61, s3, vcc_lo
	v_cmp_gt_i32_e64 s3, s11, v59
	v_cmp_lt_i32_e64 s4, -1, v14
	v_or_b32_e32 v14, v15, v23
	v_or_b32_e32 v21, v55, v48
	;; [unrolled: 1-line block ×3, first 2 shown]
	s_and_b32 s80, s3, s0
	v_dual_ashrrev_i32 v11, 31, v10 :: v_dual_bitop2_b32 v27, v11, v25 bitop3:0x54
	v_or_b32_e32 v19, v59, v44
	v_add_nc_u32_e32 v18, v59, v20
	v_or_b32_e32 v17, v58, v44
	s_and_b32 s4, s80, s4
	v_cmp_gt_i32_e64 s0, s10, v44
	s_and_b32 s62, s4, vcc_lo
	v_cmp_lt_i32_e64 s4, -1, v14
	v_or_b32_e32 v22, v19, v23
	v_or_b32_e32 v49, v19, v41
	v_dual_ashrrev_i32 v19, 31, v18 :: v_dual_bitop2_b32 v33, v19, v25 bitop3:0x54
	v_dual_add_nc_u32 v14, v55, v20 :: v_dual_bitop2_b32 v16, v17, v23 bitop3:0x54
	s_and_b32 s81, s1, s0
	v_or_b32_e32 v26, v58, v48
	s_and_b32 s4, s81, s4
	s_and_b32 s82, s2, s0
	s_and_b32 s63, s4, vcc_lo
	v_cmp_lt_i32_e64 s4, -1, v16
	s_and_b32 s83, s3, s0
	v_cmp_gt_i32_e64 s0, s10, v48
	v_or_b32_e32 v30, v15, v25
	v_or_b32_e32 v47, v17, v41
	s_and_b32 s4, s82, s4
	v_dual_add_nc_u32 v37, v40, v34 :: v_dual_bitop2_b32 v28, v59, v48 bitop3:0x54
	s_and_b32 s64, s4, vcc_lo
	v_cmp_lt_i32_e64 s4, -1, v22
	s_and_b32 s84, s1, s0
	s_and_b32 s85, s2, s0
	;; [unrolled: 1-line block ×3, first 2 shown]
	v_cmp_lt_i32_e64 s0, -1, v24
	v_add_nc_u32_e32 v24, v59, v31
	v_dual_ashrrev_i32 v15, 31, v14 :: v_dual_bitop2_b32 v46, v15, v41 bitop3:0x54
	v_or_b32_e32 v22, v26, v23
	v_dual_add_nc_u32 v16, v58, v20 :: v_dual_bitop2_b32 v20, v21, v23 bitop3:0x54
	v_or_b32_e32 v35, v28, v23
	s_and_b32 s4, s83, s4
	s_delay_alu instid0(VALU_DEP_3)
	v_cmp_lt_i32_e64 s1, -1, v22
	s_and_b32 s65, s4, vcc_lo
	v_cmp_lt_i32_e64 s4, -1, v20
	v_dual_add_nc_u32 v20, v55, v31 :: v_dual_add_nc_u32 v22, v58, v31
	s_and_b32 s1, s85, s1
	v_or_b32_e32 v29, v13, v25
	s_and_b32 s67, s1, vcc_lo
	v_cmp_lt_i32_e64 s1, -1, v35
	v_mul_lo_u32 v35, v37, s11
	s_and_b32 s4, s84, s4
	v_add_nc_u32_e32 v31, v44, v34
	s_and_b32 s66, s4, vcc_lo
	s_and_b32 s1, s86, s1
	s_and_b32 s0, s78, s0
	s_and_b32 s68, s1, vcc_lo
	v_cmp_gt_i32_e32 vcc_lo, s9, v25
	v_cmp_lt_i32_e64 s1, -1, v27
	v_or_b32_e32 v32, v17, v25
	v_or_b32_e32 v50, v21, v41
	;; [unrolled: 1-line block ×4, first 2 shown]
	s_and_b32 s69, s0, vcc_lo
	s_and_b32 s0, s79, s1
	v_mul_lo_u32 v39, v31, s11
	v_or_b32_e32 v51, v26, v41
	v_or_b32_e32 v53, v28, v41
	v_dual_add_nc_u32 v26, v55, v35 :: v_dual_bitop2_b32 v37, v28, v25 bitop3:0x54
	v_add_nc_u32_e32 v28, v58, v35
	v_cmp_lt_i32_e64 s1, -1, v30
	v_dual_add_nc_u32 v30, v59, v35 :: v_dual_add_nc_u32 v35, v48, v34
	s_and_b32 s70, s0, vcc_lo
	v_cmp_lt_i32_e64 s0, -1, v29
	v_dual_ashrrev_i32 v29, 31, v28 :: v_dual_add_nc_u32 v34, v58, v39
	s_delay_alu instid0(VALU_DEP_3)
	v_mul_lo_u32 v52, v35, s11
	v_add_nc_u32_e32 v56, v40, v54
	s_and_b32 s0, s80, s0
	v_ashrrev_i32_e32 v9, 31, v8
	s_and_b32 s71, s0, vcc_lo
	s_and_b32 s0, s81, s1
	v_cmp_lt_i32_e64 s1, -1, v33
	s_and_b32 s72, s0, vcc_lo
	v_cmp_lt_i32_e64 s0, -1, v32
	v_ashrrev_i32_e32 v35, 31, v34
	v_mul_lo_u32 v56, v56, s11
	s_and_b32 s3, s83, s1
	v_cmp_lt_i32_e64 s1, -1, v38
	s_and_b32 s0, s82, s0
	v_add_nc_u32_e32 v38, v55, v52
	s_and_b32 s73, s0, vcc_lo
	v_cmp_lt_i32_e64 s0, -1, v36
	v_add_nc_u32_e32 v36, v59, v39
	v_cmp_lt_i32_e64 s2, -1, v37
	v_dual_ashrrev_i32 v17, 31, v16 :: v_dual_bitop2_b32 v45, v13, v41 bitop3:0x54
	s_and_b32 s0, s84, s0
	v_ashrrev_i32_e32 v25, 31, v24
	s_and_b32 s75, s0, vcc_lo
	s_and_b32 s0, s85, s1
	v_cmp_lt_i32_e64 s1, -1, v42
	s_and_b32 s76, s0, vcc_lo
	v_cmp_gt_i32_e64 s0, s9, v41
	s_and_b32 s2, s86, s2
	s_and_b32 s74, s3, vcc_lo
	s_and_b32 s1, s78, s1
	s_and_b32 s77, s2, vcc_lo
	s_and_b32 s78, s1, s0
	v_cmp_lt_i32_e32 vcc_lo, -1, v45
	v_dual_add_nc_u32 v45, v44, v54 :: v_dual_add_nc_u32 v44, v55, v56
	v_cmp_lt_i32_e64 s1, -1, v46
	v_cmp_lt_i32_e64 s4, -1, v49
	v_dual_add_nc_u32 v46, v58, v56 :: v_dual_add_nc_u32 v49, v48, v54
	s_delay_alu instid0(VALU_DEP_4)
	v_mul_lo_u32 v57, v45, s11
	v_ashrrev_i32_e32 v13, 31, v12
	v_cmp_lt_i32_e64 s3, -1, v43
	v_cmp_lt_i32_e64 s2, -1, v47
	v_mul_lo_u32 v60, v49, s11
	s_and_b32 s1, s81, s1
	v_add_nc_u32_e32 v32, v55, v39
	s_and_b32 s3, s79, s3
	s_and_b32 s81, s1, s0
	;; [unrolled: 1-line block ×3, first 2 shown]
	s_and_b32 s3, s80, vcc_lo
	s_and_b32 s1, s82, s2
	v_dual_add_nc_u32 v40, v58, v52 :: v_dual_add_nc_u32 v42, v59, v52
	v_cmp_lt_i32_e32 vcc_lo, -1, v50
	v_add_nc_u32_e32 v50, v55, v57
	v_dual_add_nc_u32 v48, v59, v56 :: v_dual_add_nc_u32 v52, v58, v57
	v_add_nc_u32_e32 v54, v59, v57
	v_dual_add_nc_u32 v56, v55, v60 :: v_dual_add_nc_u32 v58, v58, v60
	v_dual_add_nc_u32 v60, v59, v60 :: v_dual_add_nc_u32 v72, s8, v70
	s_and_b32 s80, s3, s0
	v_cmp_lt_i32_e64 s3, -1, v51
	s_and_b32 s2, s1, s0
	v_cmp_lt_i32_e64 s1, -1, v53
	v_lshl_add_u64 v[6:7], v[6:7], 1, s[28:29]
	s_wait_kmcnt 0x0
	v_lshl_add_u64 v[8:9], v[8:9], 1, s[36:37]
	v_dual_ashrrev_i32 v21, 31, v20 :: v_dual_ashrrev_i32 v23, 31, v22
	v_ashrrev_i32_e32 v27, 31, v26
	v_dual_ashrrev_i32 v31, 31, v30 :: v_dual_ashrrev_i32 v33, 31, v32
	v_dual_ashrrev_i32 v37, 31, v36 :: v_dual_ashrrev_i32 v39, 31, v38
	;; [unrolled: 1-line block ×7, first 2 shown]
	v_dual_ashrrev_i32 v61, 31, v60 :: v_dual_mov_b32 v71, 0
	s_and_b32 s4, s83, s4
	s_and_b32 s82, s84, vcc_lo
	s_and_b32 s3, s85, s3
	s_and_b32 s83, s86, s1
	;; [unrolled: 1-line block ×6, first 2 shown]
	s_mov_b32 s0, 0
	s_branch .LBB29_7
.LBB29_6:                               ;   in Loop: Header=BB29_7 Depth=2
	s_wait_xcnt 0x0
	s_or_b32 exec_lo, exec_lo, s83
	s_wait_loadcnt 0x19
	v_dual_lshlrev_b32 v64, 16, v73 :: v_dual_lshlrev_b32 v65, 16, v75
	v_add_nc_u64_e32 v[8:9], 54, v[8:9]
	v_add_nc_u32_e32 v70, 1, v70
	s_delay_alu instid0(VALU_DEP_3) | instskip(SKIP_2) | instid1(VALU_DEP_3)
	v_dual_fmac_f32 v71, v63, v64 :: v_dual_add_nc_u32 v62, s31, v62
	s_wait_loadcnt 0x17
	v_dual_lshlrev_b32 v63, 16, v77 :: v_dual_lshlrev_b32 v64, 16, v79
	v_cmp_ge_i32_e32 vcc_lo, v70, v72
	s_delay_alu instid0(VALU_DEP_3) | instskip(SKIP_2) | instid1(VALU_DEP_1)
	v_fmac_f32_e32 v71, v76, v65
	s_or_b32 s0, vcc_lo, s0
	s_wait_loadcnt 0x16
	v_dual_fmac_f32 v71, v74, v63 :: v_dual_lshlrev_b32 v63, 16, v81
	s_wait_loadcnt 0x15
	s_delay_alu instid0(VALU_DEP_1) | instskip(SKIP_1) | instid1(VALU_DEP_1)
	v_dual_fmac_f32 v71, v80, v64 :: v_dual_lshlrev_b32 v64, 16, v83
	s_wait_loadcnt 0x14
	v_dual_fmac_f32 v71, v78, v63 :: v_dual_lshlrev_b32 v63, 16, v85
	s_wait_loadcnt 0x13
	s_delay_alu instid0(VALU_DEP_1) | instskip(SKIP_1) | instid1(VALU_DEP_1)
	v_dual_fmac_f32 v71, v84, v64 :: v_dual_lshlrev_b32 v64, 16, v87
	;; [unrolled: 5-line block ×10, first 2 shown]
	s_wait_loadcnt 0x2
	v_dual_fmac_f32 v71, v114, v63 :: v_dual_lshlrev_b32 v63, 16, v121
	s_delay_alu instid0(VALU_DEP_1) | instskip(SKIP_1) | instid1(VALU_DEP_1)
	v_fmac_f32_e32 v71, v120, v64
	s_wait_loadcnt 0x1
	v_dual_fmac_f32 v71, v118, v63 :: v_dual_lshlrev_b32 v64, 16, v124
	s_wait_loadcnt 0x0
	s_delay_alu instid0(VALU_DEP_1) | instskip(NEXT) | instid1(VALU_DEP_1)
	v_dual_lshlrev_b32 v63, 16, v125 :: v_dual_fmac_f32 v71, v123, v64
	v_fmac_f32_e32 v71, v122, v63
	s_and_not1_b32 exec_lo, exec_lo, s0
	s_cbranch_execz .LBB29_2
.LBB29_7:                               ;   Parent Loop BB29_4 Depth=1
                                        ; =>  This Inner Loop Header: Depth=2
	global_load_u16 v73, v[8:9], off
	v_ashrrev_i32_e32 v63, 31, v62
	s_delay_alu instid0(VALU_DEP_1)
	v_lshl_add_u64 v[64:65], v[62:63], 1, v[6:7]
	v_mov_b32_e32 v63, 0
	s_wait_xcnt 0x0
	s_and_saveexec_b32 s83, s60
	s_cbranch_execz .LBB29_9
; %bb.8:                                ;   in Loop: Header=BB29_7 Depth=2
	v_lshl_add_u64 v[74:75], v[4:5], 1, v[64:65]
	global_load_u16 v63, v[74:75], off
	s_wait_loadcnt 0x0
	v_lshlrev_b32_e32 v63, 16, v63
.LBB29_9:                               ;   in Loop: Header=BB29_7 Depth=2
	s_wait_xcnt 0x0
	s_or_b32 exec_lo, exec_lo, s83
	global_load_u16 v75, v[8:9], off offset:2
	v_dual_mov_b32 v74, 0 :: v_dual_mov_b32 v76, 0
	s_wait_xcnt 0x0
	s_and_saveexec_b32 s83, s61
	s_cbranch_execz .LBB29_11
; %bb.10:                               ;   in Loop: Header=BB29_7 Depth=2
	v_lshl_add_u64 v[76:77], v[10:11], 1, v[64:65]
	global_load_u16 v76, v[76:77], off
	s_wait_loadcnt 0x0
	s_wait_xcnt 0x0
	v_lshlrev_b32_e32 v76, 16, v76
.LBB29_11:                              ;   in Loop: Header=BB29_7 Depth=2
	s_or_b32 exec_lo, exec_lo, s83
	global_load_u16 v77, v[8:9], off offset:4
	s_wait_xcnt 0x0
	s_and_saveexec_b32 s83, s62
	s_cbranch_execz .LBB29_13
; %bb.12:                               ;   in Loop: Header=BB29_7 Depth=2
	v_lshl_add_u64 v[78:79], v[12:13], 1, v[64:65]
	global_load_u16 v74, v[78:79], off
	s_wait_loadcnt 0x0
	v_lshlrev_b32_e32 v74, 16, v74
.LBB29_13:                              ;   in Loop: Header=BB29_7 Depth=2
	s_wait_xcnt 0x0
	s_or_b32 exec_lo, exec_lo, s83
	global_load_u16 v79, v[8:9], off offset:6
	v_dual_mov_b32 v78, 0 :: v_dual_mov_b32 v80, 0
	s_wait_xcnt 0x0
	s_and_saveexec_b32 s83, s63
	s_cbranch_execz .LBB29_15
; %bb.14:                               ;   in Loop: Header=BB29_7 Depth=2
	v_lshl_add_u64 v[80:81], v[14:15], 1, v[64:65]
	global_load_u16 v80, v[80:81], off
	s_wait_loadcnt 0x0
	s_wait_xcnt 0x0
	v_lshlrev_b32_e32 v80, 16, v80
.LBB29_15:                              ;   in Loop: Header=BB29_7 Depth=2
	s_or_b32 exec_lo, exec_lo, s83
	global_load_u16 v81, v[8:9], off offset:8
	s_wait_xcnt 0x0
	s_and_saveexec_b32 s83, s64
	s_cbranch_execz .LBB29_17
; %bb.16:                               ;   in Loop: Header=BB29_7 Depth=2
	v_lshl_add_u64 v[82:83], v[16:17], 1, v[64:65]
	global_load_u16 v78, v[82:83], off
	s_wait_loadcnt 0x0
	v_lshlrev_b32_e32 v78, 16, v78
.LBB29_17:                              ;   in Loop: Header=BB29_7 Depth=2
	;; [unrolled: 25-line block ×12, first 2 shown]
	s_wait_xcnt 0x0
	s_or_b32 exec_lo, exec_lo, s83
	global_load_u16 v124, v[8:9], off offset:50
	v_dual_mov_b32 v122, 0 :: v_dual_mov_b32 v123, 0
	s_wait_xcnt 0x0
	s_and_saveexec_b32 s83, s1
	s_cbranch_execz .LBB29_59
; %bb.58:                               ;   in Loop: Header=BB29_7 Depth=2
	v_lshl_add_u64 v[126:127], v[58:59], 1, v[64:65]
	global_load_u16 v123, v[126:127], off
	s_wait_loadcnt 0x0
	v_lshlrev_b32_e32 v123, 16, v123
.LBB29_59:                              ;   in Loop: Header=BB29_7 Depth=2
	s_wait_xcnt 0x0
	s_or_b32 exec_lo, exec_lo, s83
	global_load_u16 v125, v[8:9], off offset:52
	s_wait_xcnt 0x0
	s_and_saveexec_b32 s83, s3
	s_cbranch_execz .LBB29_6
; %bb.60:                               ;   in Loop: Header=BB29_7 Depth=2
	v_lshl_add_u64 v[64:65], v[60:61], 1, v[64:65]
	global_load_u16 v64, v[64:65], off
	s_wait_loadcnt 0x0
	v_lshlrev_b32_e32 v122, 16, v64
	s_branch .LBB29_6
.LBB29_61:                              ;   in Loop: Header=BB29_4 Depth=1
	v_mov_b32_e32 v71, 0
	s_branch .LBB29_3
.LBB29_62:
	s_sendmsg sendmsg(MSG_DEALLOC_VGPRS)
	s_endpgm
	.section	.rodata,"a",@progbits
	.p2align	6, 0x0
	.amdhsa_kernel _ZN2at6native12_GLOBAL__N_143conv_depthwise3d_cuda_backward_input_kernelIN3c108BFloat16EfLi3ELi3ELi3ELin1ELin1ELin1ELi1ELi1ELi1EEEvN5torch10headeronly6detail27GenericPackedTensorAccessorINS7_14TensorAccessorINS3_8ArrayRefIlEEKT_Lm4ENS6_16DefaultPtrTraitsEiEENS_6detail16IndexBoundsCheckILm5EiEESD_Lm5ESE_iEENS8_INS9_ISB_SC_Lm4ESE_iEESI_SC_Lm5ESE_iEESJ_iiiiiiiii
		.amdhsa_group_segment_fixed_size 0
		.amdhsa_private_segment_fixed_size 0
		.amdhsa_kernarg_size 440
		.amdhsa_user_sgpr_count 2
		.amdhsa_user_sgpr_dispatch_ptr 0
		.amdhsa_user_sgpr_queue_ptr 0
		.amdhsa_user_sgpr_kernarg_segment_ptr 1
		.amdhsa_user_sgpr_dispatch_id 0
		.amdhsa_user_sgpr_kernarg_preload_length 0
		.amdhsa_user_sgpr_kernarg_preload_offset 0
		.amdhsa_user_sgpr_private_segment_size 0
		.amdhsa_wavefront_size32 1
		.amdhsa_uses_dynamic_stack 0
		.amdhsa_enable_private_segment 0
		.amdhsa_system_sgpr_workgroup_id_x 1
		.amdhsa_system_sgpr_workgroup_id_y 0
		.amdhsa_system_sgpr_workgroup_id_z 0
		.amdhsa_system_sgpr_workgroup_info 0
		.amdhsa_system_vgpr_workitem_id 0
		.amdhsa_next_free_vgpr 128
		.amdhsa_next_free_sgpr 87
		.amdhsa_named_barrier_count 0
		.amdhsa_reserve_vcc 1
		.amdhsa_float_round_mode_32 0
		.amdhsa_float_round_mode_16_64 0
		.amdhsa_float_denorm_mode_32 3
		.amdhsa_float_denorm_mode_16_64 3
		.amdhsa_fp16_overflow 0
		.amdhsa_memory_ordered 1
		.amdhsa_forward_progress 1
		.amdhsa_inst_pref_size 38
		.amdhsa_round_robin_scheduling 0
		.amdhsa_exception_fp_ieee_invalid_op 0
		.amdhsa_exception_fp_denorm_src 0
		.amdhsa_exception_fp_ieee_div_zero 0
		.amdhsa_exception_fp_ieee_overflow 0
		.amdhsa_exception_fp_ieee_underflow 0
		.amdhsa_exception_fp_ieee_inexact 0
		.amdhsa_exception_int_div_zero 0
	.end_amdhsa_kernel
	.section	.text._ZN2at6native12_GLOBAL__N_143conv_depthwise3d_cuda_backward_input_kernelIN3c108BFloat16EfLi3ELi3ELi3ELin1ELin1ELin1ELi1ELi1ELi1EEEvN5torch10headeronly6detail27GenericPackedTensorAccessorINS7_14TensorAccessorINS3_8ArrayRefIlEEKT_Lm4ENS6_16DefaultPtrTraitsEiEENS_6detail16IndexBoundsCheckILm5EiEESD_Lm5ESE_iEENS8_INS9_ISB_SC_Lm4ESE_iEESI_SC_Lm5ESE_iEESJ_iiiiiiiii,"axG",@progbits,_ZN2at6native12_GLOBAL__N_143conv_depthwise3d_cuda_backward_input_kernelIN3c108BFloat16EfLi3ELi3ELi3ELin1ELin1ELin1ELi1ELi1ELi1EEEvN5torch10headeronly6detail27GenericPackedTensorAccessorINS7_14TensorAccessorINS3_8ArrayRefIlEEKT_Lm4ENS6_16DefaultPtrTraitsEiEENS_6detail16IndexBoundsCheckILm5EiEESD_Lm5ESE_iEENS8_INS9_ISB_SC_Lm4ESE_iEESI_SC_Lm5ESE_iEESJ_iiiiiiiii,comdat
.Lfunc_end29:
	.size	_ZN2at6native12_GLOBAL__N_143conv_depthwise3d_cuda_backward_input_kernelIN3c108BFloat16EfLi3ELi3ELi3ELin1ELin1ELin1ELi1ELi1ELi1EEEvN5torch10headeronly6detail27GenericPackedTensorAccessorINS7_14TensorAccessorINS3_8ArrayRefIlEEKT_Lm4ENS6_16DefaultPtrTraitsEiEENS_6detail16IndexBoundsCheckILm5EiEESD_Lm5ESE_iEENS8_INS9_ISB_SC_Lm4ESE_iEESI_SC_Lm5ESE_iEESJ_iiiiiiiii, .Lfunc_end29-_ZN2at6native12_GLOBAL__N_143conv_depthwise3d_cuda_backward_input_kernelIN3c108BFloat16EfLi3ELi3ELi3ELin1ELin1ELin1ELi1ELi1ELi1EEEvN5torch10headeronly6detail27GenericPackedTensorAccessorINS7_14TensorAccessorINS3_8ArrayRefIlEEKT_Lm4ENS6_16DefaultPtrTraitsEiEENS_6detail16IndexBoundsCheckILm5EiEESD_Lm5ESE_iEENS8_INS9_ISB_SC_Lm4ESE_iEESI_SC_Lm5ESE_iEESJ_iiiiiiiii
                                        ; -- End function
	.set _ZN2at6native12_GLOBAL__N_143conv_depthwise3d_cuda_backward_input_kernelIN3c108BFloat16EfLi3ELi3ELi3ELin1ELin1ELin1ELi1ELi1ELi1EEEvN5torch10headeronly6detail27GenericPackedTensorAccessorINS7_14TensorAccessorINS3_8ArrayRefIlEEKT_Lm4ENS6_16DefaultPtrTraitsEiEENS_6detail16IndexBoundsCheckILm5EiEESD_Lm5ESE_iEENS8_INS9_ISB_SC_Lm4ESE_iEESI_SC_Lm5ESE_iEESJ_iiiiiiiii.num_vgpr, 128
	.set _ZN2at6native12_GLOBAL__N_143conv_depthwise3d_cuda_backward_input_kernelIN3c108BFloat16EfLi3ELi3ELi3ELin1ELin1ELin1ELi1ELi1ELi1EEEvN5torch10headeronly6detail27GenericPackedTensorAccessorINS7_14TensorAccessorINS3_8ArrayRefIlEEKT_Lm4ENS6_16DefaultPtrTraitsEiEENS_6detail16IndexBoundsCheckILm5EiEESD_Lm5ESE_iEENS8_INS9_ISB_SC_Lm4ESE_iEESI_SC_Lm5ESE_iEESJ_iiiiiiiii.num_agpr, 0
	.set _ZN2at6native12_GLOBAL__N_143conv_depthwise3d_cuda_backward_input_kernelIN3c108BFloat16EfLi3ELi3ELi3ELin1ELin1ELin1ELi1ELi1ELi1EEEvN5torch10headeronly6detail27GenericPackedTensorAccessorINS7_14TensorAccessorINS3_8ArrayRefIlEEKT_Lm4ENS6_16DefaultPtrTraitsEiEENS_6detail16IndexBoundsCheckILm5EiEESD_Lm5ESE_iEENS8_INS9_ISB_SC_Lm4ESE_iEESI_SC_Lm5ESE_iEESJ_iiiiiiiii.numbered_sgpr, 87
	.set _ZN2at6native12_GLOBAL__N_143conv_depthwise3d_cuda_backward_input_kernelIN3c108BFloat16EfLi3ELi3ELi3ELin1ELin1ELin1ELi1ELi1ELi1EEEvN5torch10headeronly6detail27GenericPackedTensorAccessorINS7_14TensorAccessorINS3_8ArrayRefIlEEKT_Lm4ENS6_16DefaultPtrTraitsEiEENS_6detail16IndexBoundsCheckILm5EiEESD_Lm5ESE_iEENS8_INS9_ISB_SC_Lm4ESE_iEESI_SC_Lm5ESE_iEESJ_iiiiiiiii.num_named_barrier, 0
	.set _ZN2at6native12_GLOBAL__N_143conv_depthwise3d_cuda_backward_input_kernelIN3c108BFloat16EfLi3ELi3ELi3ELin1ELin1ELin1ELi1ELi1ELi1EEEvN5torch10headeronly6detail27GenericPackedTensorAccessorINS7_14TensorAccessorINS3_8ArrayRefIlEEKT_Lm4ENS6_16DefaultPtrTraitsEiEENS_6detail16IndexBoundsCheckILm5EiEESD_Lm5ESE_iEENS8_INS9_ISB_SC_Lm4ESE_iEESI_SC_Lm5ESE_iEESJ_iiiiiiiii.private_seg_size, 0
	.set _ZN2at6native12_GLOBAL__N_143conv_depthwise3d_cuda_backward_input_kernelIN3c108BFloat16EfLi3ELi3ELi3ELin1ELin1ELin1ELi1ELi1ELi1EEEvN5torch10headeronly6detail27GenericPackedTensorAccessorINS7_14TensorAccessorINS3_8ArrayRefIlEEKT_Lm4ENS6_16DefaultPtrTraitsEiEENS_6detail16IndexBoundsCheckILm5EiEESD_Lm5ESE_iEENS8_INS9_ISB_SC_Lm4ESE_iEESI_SC_Lm5ESE_iEESJ_iiiiiiiii.uses_vcc, 1
	.set _ZN2at6native12_GLOBAL__N_143conv_depthwise3d_cuda_backward_input_kernelIN3c108BFloat16EfLi3ELi3ELi3ELin1ELin1ELin1ELi1ELi1ELi1EEEvN5torch10headeronly6detail27GenericPackedTensorAccessorINS7_14TensorAccessorINS3_8ArrayRefIlEEKT_Lm4ENS6_16DefaultPtrTraitsEiEENS_6detail16IndexBoundsCheckILm5EiEESD_Lm5ESE_iEENS8_INS9_ISB_SC_Lm4ESE_iEESI_SC_Lm5ESE_iEESJ_iiiiiiiii.uses_flat_scratch, 0
	.set _ZN2at6native12_GLOBAL__N_143conv_depthwise3d_cuda_backward_input_kernelIN3c108BFloat16EfLi3ELi3ELi3ELin1ELin1ELin1ELi1ELi1ELi1EEEvN5torch10headeronly6detail27GenericPackedTensorAccessorINS7_14TensorAccessorINS3_8ArrayRefIlEEKT_Lm4ENS6_16DefaultPtrTraitsEiEENS_6detail16IndexBoundsCheckILm5EiEESD_Lm5ESE_iEENS8_INS9_ISB_SC_Lm4ESE_iEESI_SC_Lm5ESE_iEESJ_iiiiiiiii.has_dyn_sized_stack, 0
	.set _ZN2at6native12_GLOBAL__N_143conv_depthwise3d_cuda_backward_input_kernelIN3c108BFloat16EfLi3ELi3ELi3ELin1ELin1ELin1ELi1ELi1ELi1EEEvN5torch10headeronly6detail27GenericPackedTensorAccessorINS7_14TensorAccessorINS3_8ArrayRefIlEEKT_Lm4ENS6_16DefaultPtrTraitsEiEENS_6detail16IndexBoundsCheckILm5EiEESD_Lm5ESE_iEENS8_INS9_ISB_SC_Lm4ESE_iEESI_SC_Lm5ESE_iEESJ_iiiiiiiii.has_recursion, 0
	.set _ZN2at6native12_GLOBAL__N_143conv_depthwise3d_cuda_backward_input_kernelIN3c108BFloat16EfLi3ELi3ELi3ELin1ELin1ELin1ELi1ELi1ELi1EEEvN5torch10headeronly6detail27GenericPackedTensorAccessorINS7_14TensorAccessorINS3_8ArrayRefIlEEKT_Lm4ENS6_16DefaultPtrTraitsEiEENS_6detail16IndexBoundsCheckILm5EiEESD_Lm5ESE_iEENS8_INS9_ISB_SC_Lm4ESE_iEESI_SC_Lm5ESE_iEESJ_iiiiiiiii.has_indirect_call, 0
	.section	.AMDGPU.csdata,"",@progbits
; Kernel info:
; codeLenInByte = 4836
; TotalNumSgprs: 89
; NumVgprs: 128
; ScratchSize: 0
; MemoryBound: 0
; FloatMode: 240
; IeeeMode: 1
; LDSByteSize: 0 bytes/workgroup (compile time only)
; SGPRBlocks: 0
; VGPRBlocks: 7
; NumSGPRsForWavesPerEU: 89
; NumVGPRsForWavesPerEU: 128
; NamedBarCnt: 0
; Occupancy: 8
; WaveLimiterHint : 0
; COMPUTE_PGM_RSRC2:SCRATCH_EN: 0
; COMPUTE_PGM_RSRC2:USER_SGPR: 2
; COMPUTE_PGM_RSRC2:TRAP_HANDLER: 0
; COMPUTE_PGM_RSRC2:TGID_X_EN: 1
; COMPUTE_PGM_RSRC2:TGID_Y_EN: 0
; COMPUTE_PGM_RSRC2:TGID_Z_EN: 0
; COMPUTE_PGM_RSRC2:TIDIG_COMP_CNT: 0
	.section	.text._ZN2at6native12_GLOBAL__N_143conv_depthwise3d_cuda_backward_input_kernelIN3c108BFloat16EfLi3ELi3ELi3ELin1ELin1ELin1ELin1ELin1ELin1EEEvN5torch10headeronly6detail27GenericPackedTensorAccessorINS7_14TensorAccessorINS3_8ArrayRefIlEEKT_Lm4ENS6_16DefaultPtrTraitsEiEENS_6detail16IndexBoundsCheckILm5EiEESD_Lm5ESE_iEENS8_INS9_ISB_SC_Lm4ESE_iEESI_SC_Lm5ESE_iEESJ_iiiiiiiii,"axG",@progbits,_ZN2at6native12_GLOBAL__N_143conv_depthwise3d_cuda_backward_input_kernelIN3c108BFloat16EfLi3ELi3ELi3ELin1ELin1ELin1ELin1ELin1ELin1EEEvN5torch10headeronly6detail27GenericPackedTensorAccessorINS7_14TensorAccessorINS3_8ArrayRefIlEEKT_Lm4ENS6_16DefaultPtrTraitsEiEENS_6detail16IndexBoundsCheckILm5EiEESD_Lm5ESE_iEENS8_INS9_ISB_SC_Lm4ESE_iEESI_SC_Lm5ESE_iEESJ_iiiiiiiii,comdat
	.globl	_ZN2at6native12_GLOBAL__N_143conv_depthwise3d_cuda_backward_input_kernelIN3c108BFloat16EfLi3ELi3ELi3ELin1ELin1ELin1ELin1ELin1ELin1EEEvN5torch10headeronly6detail27GenericPackedTensorAccessorINS7_14TensorAccessorINS3_8ArrayRefIlEEKT_Lm4ENS6_16DefaultPtrTraitsEiEENS_6detail16IndexBoundsCheckILm5EiEESD_Lm5ESE_iEENS8_INS9_ISB_SC_Lm4ESE_iEESI_SC_Lm5ESE_iEESJ_iiiiiiiii ; -- Begin function _ZN2at6native12_GLOBAL__N_143conv_depthwise3d_cuda_backward_input_kernelIN3c108BFloat16EfLi3ELi3ELi3ELin1ELin1ELin1ELin1ELin1ELin1EEEvN5torch10headeronly6detail27GenericPackedTensorAccessorINS7_14TensorAccessorINS3_8ArrayRefIlEEKT_Lm4ENS6_16DefaultPtrTraitsEiEENS_6detail16IndexBoundsCheckILm5EiEESD_Lm5ESE_iEENS8_INS9_ISB_SC_Lm4ESE_iEESI_SC_Lm5ESE_iEESJ_iiiiiiiii
	.p2align	8
	.type	_ZN2at6native12_GLOBAL__N_143conv_depthwise3d_cuda_backward_input_kernelIN3c108BFloat16EfLi3ELi3ELi3ELin1ELin1ELin1ELin1ELin1ELin1EEEvN5torch10headeronly6detail27GenericPackedTensorAccessorINS7_14TensorAccessorINS3_8ArrayRefIlEEKT_Lm4ENS6_16DefaultPtrTraitsEiEENS_6detail16IndexBoundsCheckILm5EiEESD_Lm5ESE_iEENS8_INS9_ISB_SC_Lm4ESE_iEESI_SC_Lm5ESE_iEESJ_iiiiiiiii,@function
_ZN2at6native12_GLOBAL__N_143conv_depthwise3d_cuda_backward_input_kernelIN3c108BFloat16EfLi3ELi3ELi3ELin1ELin1ELin1ELin1ELin1ELin1EEEvN5torch10headeronly6detail27GenericPackedTensorAccessorINS7_14TensorAccessorINS3_8ArrayRefIlEEKT_Lm4ENS6_16DefaultPtrTraitsEiEENS_6detail16IndexBoundsCheckILm5EiEESD_Lm5ESE_iEENS8_INS9_ISB_SC_Lm4ESE_iEESI_SC_Lm5ESE_iEESJ_iiiiiiiii: ; @_ZN2at6native12_GLOBAL__N_143conv_depthwise3d_cuda_backward_input_kernelIN3c108BFloat16EfLi3ELi3ELi3ELin1ELin1ELin1ELin1ELin1ELin1EEEvN5torch10headeronly6detail27GenericPackedTensorAccessorINS7_14TensorAccessorINS3_8ArrayRefIlEEKT_Lm4ENS6_16DefaultPtrTraitsEiEENS_6detail16IndexBoundsCheckILm5EiEESD_Lm5ESE_iEENS8_INS9_ISB_SC_Lm4ESE_iEESI_SC_Lm5ESE_iEESJ_iiiiiiiii
; %bb.0:
	s_clause 0x2
	s_load_b128 s[44:47], s[0:1], 0x38
	s_load_b32 s2, s[0:1], 0xc4
	s_load_b64 s[30:31], s[0:1], 0x48
	s_bfe_u32 s3, ttmp6, 0x4000c
	s_and_b32 s4, ttmp6, 15
	s_add_co_i32 s3, s3, 1
	s_getreg_b32 s5, hwreg(HW_REG_IB_STS2, 6, 4)
	s_mul_i32 s3, ttmp9, s3
	v_mov_b32_e32 v1, 0
	s_add_co_i32 s4, s4, s3
                                        ; implicit-def: $vgpr126 : SGPR spill to VGPR lane
	s_wait_kmcnt 0x0
	s_abs_i32 s33, s45
	s_and_b32 s2, s2, 0xffff
	s_cmp_eq_u32 s5, 0
	s_cselect_b32 s3, ttmp9, s4
	s_mul_i32 s4, s31, s44
	v_mad_nc_u64_u32 v[2:3], s2, s3, v[0:1]
	s_cvt_f32_u32 s3, s33
	s_ashr_i32 s5, s4, 31
	v_writelane_b32 v126, s4, 0
	s_delay_alu instid0(SALU_CYCLE_1) | instskip(SKIP_1) | instid1(VALU_DEP_3)
	v_rcp_iflag_f32_e32 v0, s3
	v_writelane_b32 v126, s5, 1
	v_cmp_gt_i64_e32 vcc_lo, s[4:5], v[2:3]
	s_delay_alu instid0(TRANS32_DEP_1)
	v_readfirstlane_b32 s3, v0
	s_and_saveexec_b32 s4, vcc_lo
	s_cbranch_execz .LBB30_62
; %bb.1:
	s_clause 0x1
	s_load_b128 s[48:51], s[0:1], 0xc
	s_load_b64 s[14:15], s[0:1], 0x0
	s_mul_f32 s3, s3, 0x4f7ffffe
	s_sub_co_i32 s8, 0, s33
	s_mov_b32 s11, 0
	s_add_nc_u64 s[6:7], s[0:1], 0xb8
	s_cvt_u32_f32 s3, s3
	s_mov_b32 s5, s11
	s_ashr_i32 s9, s45, 31
	s_load_b32 s12, s[0:1], 0xb0
	s_mul_i32 s4, s8, s3
	s_load_b256 s[36:43], s[0:1], 0x90
	s_mul_hi_u32 s4, s3, s4
                                        ; kill: killed $sgpr0_sgpr1
	s_mov_b32 s13, s11
	s_add_co_i32 s4, s3, s4
	s_load_b32 s3, s[6:7], 0x0
	s_mov_b32 s75, s11
	s_mov_b32 s77, s11
	s_mov_b32 s79, s11
	s_load_b128 s[52:55], s[0:1], 0x50
	s_wait_kmcnt 0x0
	s_abs_i32 s10, s48
	v_writelane_b32 v126, s14, 2
	s_mul_u64 s[4:5], s[10:11], s[4:5]
	s_ashr_i32 s4, s48, 31
	s_mul_i32 s6, s5, s33
	s_xor_b32 s4, s4, s9
	s_sub_co_i32 s6, s10, s6
	s_load_b32 s10, s[0:1], 0x7c
	v_writelane_b32 v126, s15, 3
	s_clause 0x1
	s_load_b64 s[60:61], s[0:1], 0x1c
	s_load_b64 s[14:15], s[0:1], 0x30
	s_add_co_i32 s7, s5, 1
	v_writelane_b32 v126, s9, 4
	s_sub_co_i32 s9, s6, s33
	s_cmp_ge_u32 s6, s33
	s_cselect_b32 s5, s7, s5
	s_cselect_b32 s6, s9, s6
	s_add_co_i32 s7, s5, 1
	s_cmp_ge_u32 s6, s33
	s_cselect_b32 s5, s7, s5
	s_load_b64 s[6:7], s[0:1], 0x60
	s_wait_xcnt 0x0
	s_xor_b32 s0, s5, s4
	s_delay_alu instid0(SALU_CYCLE_1)
	s_sub_co_i32 s1, s0, s4
	s_wait_kmcnt 0x0
	v_writelane_b32 v126, s10, 5
	s_cmp_gt_i32 s1, 0
	v_readfirstlane_b32 s0, v0
	s_mul_i32 s10, s3, s2
	v_writelane_b32 v126, s14, 6
	s_mul_f32 s0, s0, 0x4f7ffffe
	v_writelane_b32 v126, s15, 7
	s_delay_alu instid0(SALU_CYCLE_2) | instskip(NEXT) | instid1(SALU_CYCLE_3)
	s_cvt_u32_f32 s0, s0
	s_mul_i32 s8, s8, s0
	v_writelane_b32 v126, s6, 8
	v_writelane_b32 v126, s7, 9
	;; [unrolled: 1-line block ×3, first 2 shown]
	s_cselect_b32 s1, -1, 0
	s_abs_i32 s85, s30
	s_abs_i32 s86, s47
	s_lshl_b32 s3, s42, 1
	v_writelane_b32 v126, s1, 11
	s_lshl_b32 s1, s12, 1
	s_cvt_f32_u32 s2, s86
	s_abs_i32 s87, s46
	s_sub_co_i32 s4, 0, s86
	v_writelane_b32 v126, s12, 12
	v_rcp_iflag_f32_e32 v4, s2
	s_abs_i32 s91, s36
	s_sub_co_i32 s6, 0, s87
	s_cvt_f32_u32 s7, s91
	v_writelane_b32 v126, s1, 13
	s_lshl_b32 s1, s43, 1
	s_abs_i32 s93, s37
	s_abs_i32 s94, s38
	s_ashr_i32 s96, s37, 31
	v_writelane_b32 v126, s1, 14
	s_cvt_f32_u32 s1, s85
	s_ashr_i32 s97, s38, 31
	s_delay_alu instid0(SALU_CYCLE_2) | instskip(SKIP_4) | instid1(TRANS32_DEP_1)
	v_rcp_iflag_f32_e32 v0, s1
	v_writelane_b32 v126, s3, 15
	s_ashr_i32 s1, s30, 31
	s_cvt_f32_u32 s3, s87
	v_writelane_b32 v126, s1, 16
	v_readfirstlane_b32 s2, v0
	s_ashr_i32 s1, s47, 31
	v_rcp_iflag_f32_e32 v5, s3
	v_nop
	v_readfirstlane_b32 s3, v4
	v_writelane_b32 v126, s1, 17
	s_mul_f32 s2, s2, 0x4f7ffffe
	s_sub_co_i32 s1, 0, s85
	v_rcp_iflag_f32_e32 v0, s7
	s_mul_f32 s3, s3, 0x4f7ffffe
	s_cvt_u32_f32 s2, s2
	v_readfirstlane_b32 s5, v5
	s_mov_b32 s7, s11
	s_cvt_u32_f32 s3, s3
	s_mul_i32 s1, s1, s2
	s_delay_alu instid0(SALU_CYCLE_1) | instskip(NEXT) | instid1(SALU_CYCLE_1)
	s_mul_hi_u32 s1, s2, s1
	s_mul_i32 s4, s4, s3
	s_add_co_i32 s12, s2, s1
	s_mul_hi_u32 s4, s3, s4
	v_writelane_b32 v126, s12, 18
	s_add_co_i32 s2, s3, s4
	s_mov_b32 s3, s11
	s_mul_f32 s5, s5, 0x4f7ffffe
	s_ashr_i32 s1, s46, 31
	v_writelane_b32 v126, s13, 19
	s_delay_alu instid0(SALU_CYCLE_1) | instskip(SKIP_1) | instid1(SALU_CYCLE_2)
	s_cvt_u32_f32 s5, s5
	v_writelane_b32 v126, s2, 20
	s_mul_i32 s6, s6, s5
	v_writelane_b32 v126, s3, 21
	v_readfirstlane_b32 s2, v0
	s_mul_hi_u32 s3, s0, s8
	v_writelane_b32 v126, s1, 22
	s_mul_hi_u32 s1, s5, s6
	s_mul_f32 s2, s2, 0x4f7ffffe
	s_add_co_i32 s4, s5, s1
	s_cvt_f32_u32 s1, s93
	s_mov_b32 s5, s11
	v_writelane_b32 v126, s4, 23
	s_cvt_u32_f32 s2, s2
	v_rcp_iflag_f32_e32 v0, s1
	s_cvt_f32_u32 s1, s94
	s_add_co_i32 s6, s0, s3
	v_writelane_b32 v126, s5, 24
	s_sub_co_i32 s4, 0, s91
	v_rcp_iflag_f32_e32 v4, s1
	s_mul_i32 s4, s4, s2
	v_nop
	v_readfirstlane_b32 s1, v0
	v_writelane_b32 v126, s6, 25
	s_mul_hi_u32 s0, s2, s4
	s_ashr_i32 s4, s36, 31
	s_add_co_i32 s74, s2, s0
	v_readfirstlane_b32 s3, v4
	s_mul_f32 s1, s1, 0x4f7ffffe
	v_writelane_b32 v126, s7, 26
	s_sub_co_i32 s2, 0, s93
	s_delay_alu instid0(SALU_CYCLE_1)
	s_cvt_u32_f32 s0, s1
	s_mul_f32 s1, s3, 0x4f7ffffe
	v_writelane_b32 v126, s4, 27
	s_sub_co_i32 s3, 0, s94
	s_mul_i32 s2, s2, s0
	s_cvt_u32_f32 s1, s1
	s_mul_hi_u32 s2, s0, s2
	v_writelane_b32 v126, s10, 28
	s_add_co_i32 s76, s0, s2
	s_mul_i32 s3, s3, s1
	s_mov_b32 s98, s11
	s_mul_hi_u32 s0, s1, s3
	v_writelane_b32 v126, s11, 29
	s_add_co_i32 s78, s1, s0
	s_branch .LBB30_4
.LBB30_2:                               ;   in Loop: Header=BB30_4 Depth=1
	s_or_b32 exec_lo, exec_lo, s99
.LBB30_3:                               ;   in Loop: Header=BB30_4 Depth=1
	v_mul_lo_u32 v4, v69, s31
	v_mul_lo_u32 v6, s52, v70
	;; [unrolled: 1-line block ×3, first 2 shown]
	v_readlane_b32 s0, v126, 6
	v_readlane_b32 s1, v126, 7
	v_mul_lo_u32 v10, s54, v67
	v_mul_lo_u32 v12, s55, v66
	v_bfe_u32 v0, v72, 16, 1
	v_dual_ashrrev_i32 v5, 31, v4 :: v_dual_ashrrev_i32 v7, 31, v6
	v_ashrrev_i32_e32 v9, 31, v8
	s_delay_alu instid0(VALU_DEP_3) | instskip(SKIP_1) | instid1(VALU_DEP_4)
	v_add3_u32 v0, v72, v0, 0x7fff
	v_ashrrev_i32_e32 v11, 31, v10
	v_lshl_add_u64 v[4:5], v[4:5], 1, s[0:1]
	v_readlane_b32 s0, v126, 28
	v_readlane_b32 s1, v126, 29
	v_lshrrev_b32_e32 v0, 16, v0
	v_ashrrev_i32_e32 v13, 31, v12
	v_lshl_add_u64 v[4:5], v[6:7], 1, v[4:5]
	s_delay_alu instid0(VALU_DEP_4) | instskip(SKIP_2) | instid1(VALU_DEP_4)
	v_add_nc_u64_e32 v[2:3], s[0:1], v[2:3]
	v_readlane_b32 s0, v126, 0
	v_readlane_b32 s1, v126, 1
	v_lshl_add_u64 v[4:5], v[8:9], 1, v[4:5]
	s_delay_alu instid0(VALU_DEP_2) | instskip(NEXT) | instid1(VALU_DEP_2)
	v_cmp_le_i64_e32 vcc_lo, s[0:1], v[2:3]
	v_lshl_add_u64 v[4:5], v[10:11], 1, v[4:5]
	v_cmp_o_f32_e64 s0, v72, v72
	s_delay_alu instid0(VALU_DEP_2) | instskip(NEXT) | instid1(VALU_DEP_2)
	v_lshl_add_u64 v[4:5], v[12:13], 1, v[4:5]
	v_cndmask_b32_e64 v0, 0x7fc0, v0, s0
	s_or_b32 s98, vcc_lo, s98
	global_store_b16 v[4:5], v0, off
	s_wait_xcnt 0x0
	s_and_not1_b32 exec_lo, exec_lo, s98
	s_cbranch_execz .LBB30_62
.LBB30_4:                               ; =>This Loop Header: Depth=1
                                        ;     Child Loop BB30_7 Depth 2
	v_sub_nc_u32_e32 v0, 0, v2
	s_delay_alu instid0(VALU_DEP_2) | instskip(SKIP_1) | instid1(VALU_DEP_3)
	v_readlane_b32 s0, v126, 18
	v_readlane_b32 s1, v126, 19
	v_max_i32_e32 v0, v2, v0
	s_delay_alu instid0(VALU_DEP_1) | instskip(SKIP_1) | instid1(VALU_DEP_2)
	v_mul_u64_e32 v[4:5], s[0:1], v[0:1]
	v_readlane_b32 s0, v126, 16
	v_mul_lo_u32 v4, v5, s85
	s_delay_alu instid0(VALU_DEP_1) | instskip(NEXT) | instid1(VALU_DEP_1)
	v_dual_sub_nc_u32 v0, v0, v4 :: v_dual_add_nc_u32 v4, 1, v5
	v_cmp_le_u32_e32 vcc_lo, s85, v0
	s_delay_alu instid0(VALU_DEP_2) | instskip(SKIP_2) | instid1(VALU_DEP_2)
	v_cndmask_b32_e32 v4, v5, v4, vcc_lo
	v_subrev_nc_u32_e32 v6, s85, v0
	v_ashrrev_i32_e32 v5, 31, v2
	v_dual_cndmask_b32 v0, v0, v6, vcc_lo :: v_dual_add_nc_u32 v6, 1, v4
	s_delay_alu instid0(VALU_DEP_1) | instskip(NEXT) | instid1(VALU_DEP_3)
	v_cmp_le_u32_e32 vcc_lo, s85, v0
	v_xor_b32_e32 v5, s0, v5
	v_readlane_b32 s0, v126, 20
	v_readlane_b32 s1, v126, 21
	v_cndmask_b32_e32 v0, v4, v6, vcc_lo
	s_delay_alu instid0(VALU_DEP_1) | instskip(NEXT) | instid1(VALU_DEP_1)
	v_xor_b32_e32 v0, v0, v5
	v_sub_nc_u32_e32 v6, v0, v5
	s_delay_alu instid0(VALU_DEP_1) | instskip(NEXT) | instid1(VALU_DEP_1)
	v_sub_nc_u32_e32 v0, 0, v6
	v_max_i32_e32 v0, v6, v0
	s_delay_alu instid0(VALU_DEP_1) | instskip(SKIP_1) | instid1(VALU_DEP_2)
	v_mul_u64_e32 v[4:5], s[0:1], v[0:1]
	v_readlane_b32 s0, v126, 17
	v_mul_lo_u32 v4, v5, s86
	s_delay_alu instid0(VALU_DEP_1) | instskip(NEXT) | instid1(VALU_DEP_1)
	v_dual_sub_nc_u32 v0, v0, v4 :: v_dual_add_nc_u32 v4, 1, v5
	v_subrev_nc_u32_e32 v7, s86, v0
	v_cmp_le_u32_e32 vcc_lo, s86, v0
	s_delay_alu instid0(VALU_DEP_2) | instskip(NEXT) | instid1(VALU_DEP_1)
	v_dual_cndmask_b32 v4, v5, v4, vcc_lo :: v_dual_cndmask_b32 v0, v0, v7, vcc_lo
	v_dual_ashrrev_i32 v5, 31, v6 :: v_dual_add_nc_u32 v7, 1, v4
	s_delay_alu instid0(VALU_DEP_2) | instskip(NEXT) | instid1(VALU_DEP_2)
	v_cmp_le_u32_e32 vcc_lo, s86, v0
	v_xor_b32_e32 v5, s0, v5
	v_readlane_b32 s0, v126, 23
	v_readlane_b32 s1, v126, 24
	v_cndmask_b32_e32 v0, v4, v7, vcc_lo
	s_delay_alu instid0(VALU_DEP_1) | instskip(NEXT) | instid1(VALU_DEP_1)
	v_xor_b32_e32 v0, v0, v5
	v_sub_nc_u32_e32 v7, v0, v5
	s_delay_alu instid0(VALU_DEP_1) | instskip(NEXT) | instid1(VALU_DEP_1)
	v_sub_nc_u32_e32 v0, 0, v7
	v_max_i32_e32 v0, v7, v0
	s_delay_alu instid0(VALU_DEP_1) | instskip(SKIP_1) | instid1(VALU_DEP_2)
	v_mul_u64_e32 v[4:5], s[0:1], v[0:1]
	v_readlane_b32 s0, v126, 22
	v_mul_lo_u32 v4, v5, s87
	s_delay_alu instid0(VALU_DEP_1) | instskip(NEXT) | instid1(VALU_DEP_1)
	v_dual_sub_nc_u32 v0, v0, v4 :: v_dual_add_nc_u32 v4, 1, v5
	v_subrev_nc_u32_e32 v8, s87, v0
	v_cmp_le_u32_e32 vcc_lo, s87, v0
	s_delay_alu instid0(VALU_DEP_3) | instskip(NEXT) | instid1(VALU_DEP_1)
	v_dual_cndmask_b32 v4, v5, v4 :: v_dual_ashrrev_i32 v5, 31, v7
	v_dual_cndmask_b32 v0, v0, v8, vcc_lo :: v_dual_bitop2_b32 v5, s0, v5 bitop3:0x14
	s_delay_alu instid0(VALU_DEP_2) | instskip(NEXT) | instid1(VALU_DEP_2)
	v_add_nc_u32_e32 v8, 1, v4
	v_cmp_le_u32_e32 vcc_lo, s87, v0
	v_readlane_b32 s0, v126, 25
	v_readlane_b32 s1, v126, 26
	s_delay_alu instid0(VALU_DEP_4) | instskip(NEXT) | instid1(VALU_DEP_1)
	v_cndmask_b32_e32 v0, v4, v8, vcc_lo
	v_xor_b32_e32 v0, v0, v5
	s_delay_alu instid0(VALU_DEP_1) | instskip(NEXT) | instid1(VALU_DEP_1)
	v_sub_nc_u32_e32 v8, v0, v5
	v_sub_nc_u32_e32 v0, 0, v8
	s_delay_alu instid0(VALU_DEP_1) | instskip(NEXT) | instid1(VALU_DEP_1)
	v_max_i32_e32 v0, v8, v0
	v_mul_u64_e32 v[4:5], s[0:1], v[0:1]
	v_readlane_b32 s0, v126, 4
	s_delay_alu instid0(VALU_DEP_2) | instskip(NEXT) | instid1(VALU_DEP_1)
	v_mul_lo_u32 v4, v5, s33
	v_dual_sub_nc_u32 v0, v0, v4 :: v_dual_add_nc_u32 v4, 1, v5
	s_delay_alu instid0(VALU_DEP_1) | instskip(SKIP_1) | instid1(VALU_DEP_2)
	v_subrev_nc_u32_e32 v9, s33, v0
	v_cmp_le_u32_e32 vcc_lo, s33, v0
	v_dual_cndmask_b32 v4, v5, v4, vcc_lo :: v_dual_cndmask_b32 v0, v0, v9, vcc_lo
	v_ashrrev_i32_e32 v5, 31, v8
	s_delay_alu instid0(VALU_DEP_2) | instskip(NEXT) | instid1(VALU_DEP_3)
	v_add_nc_u32_e32 v9, 1, v4
	v_cmp_le_u32_e32 vcc_lo, s33, v0
	s_delay_alu instid0(VALU_DEP_3) | instskip(SKIP_1) | instid1(VALU_DEP_4)
	v_xor_b32_e32 v5, s0, v5
	v_readlane_b32 s0, v126, 11
	v_cndmask_b32_e32 v0, v4, v9, vcc_lo
	v_mul_lo_u32 v4, v7, s47
	s_and_not1_b32 vcc_lo, exec_lo, s0
	s_delay_alu instid0(VALU_DEP_1) | instskip(NEXT) | instid1(VALU_DEP_1)
	v_dual_sub_nc_u32 v67, v6, v4 :: v_dual_bitop2_b32 v0, v0, v5 bitop3:0x14
	v_sub_nc_u32_e32 v69, v0, v5
	v_mul_lo_u32 v0, v6, s30
	v_mul_lo_u32 v5, v8, s46
	s_delay_alu instid0(VALU_DEP_2) | instskip(NEXT) | instid1(VALU_DEP_4)
	v_sub_nc_u32_e32 v66, v2, v0
	v_mul_lo_u32 v9, v69, s45
	s_delay_alu instid0(VALU_DEP_3) | instskip(NEXT) | instid1(VALU_DEP_2)
	v_sub_nc_u32_e32 v68, v7, v5
	v_sub_nc_u32_e32 v70, v8, v9
	s_cbranch_vccnz .LBB30_61
; %bb.5:                                ;   in Loop: Header=BB30_4 Depth=1
	s_delay_alu instid0(VALU_DEP_2) | instskip(SKIP_3) | instid1(VALU_DEP_4)
	v_dual_add_nc_u32 v15, s39, v68 :: v_dual_add_nc_u32 v16, s40, v67
	v_readlane_b32 s0, v126, 14
	v_mov_b32_e32 v72, 0
	v_readlane_b32 s2, v126, 27
	v_dual_sub_nc_u32 v0, 0, v15 :: v_dual_sub_nc_u32 v5, 0, v16
	s_delay_alu instid0(VALU_DEP_4) | instskip(SKIP_1) | instid1(VALU_DEP_3)
	v_subrev_nc_u32_e32 v14, s0, v16
	v_subrev_nc_u32_e32 v24, s43, v16
	v_dual_ashrrev_i32 v7, 31, v15 :: v_dual_max_i32 v0, v15, v0
	v_add_nc_u32_e32 v17, s41, v66
	v_readlane_b32 s1, v126, 10
	s_delay_alu instid0(VALU_DEP_3) | instskip(NEXT) | instid1(VALU_DEP_4)
	v_dual_sub_nc_u32 v25, 0, v24 :: v_dual_bitop2_b32 v33, s2, v7 bitop3:0x14
	v_mul_u64_e32 v[12:13], s[74:75], v[0:1]
	v_mul_lo_u32 v6, s60, v69
	s_mul_i32 s0, s61, s1
	v_mul_lo_u32 v71, v70, s1
	v_subrev_nc_u32_e32 v22, s42, v15
	s_mov_b32 s99, 0
	v_dual_ashrrev_i32 v12, 31, v17 :: v_dual_ashrrev_i32 v27, 31, v14
	s_delay_alu instid0(VALU_DEP_2) | instskip(NEXT) | instid1(VALU_DEP_2)
	v_dual_ashrrev_i32 v34, 31, v24 :: v_dual_ashrrev_i32 v36, 31, v22
	v_dual_sub_nc_u32 v26, 0, v22 :: v_dual_bitop2_b32 v28, s97, v12 bitop3:0x14
	v_add_nc_u32_e32 v73, s1, v71
	v_mul_lo_u32 v4, v13, s91
	s_delay_alu instid0(VALU_DEP_1) | instskip(SKIP_2) | instid1(VALU_DEP_3)
	v_sub_nc_u32_e32 v19, v0, v4
	v_max_i32_e32 v0, v16, v5
	v_sub_nc_u32_e32 v5, 0, v17
	v_cmp_le_u32_e32 vcc_lo, s91, v19
	s_delay_alu instid0(VALU_DEP_3) | instskip(SKIP_1) | instid1(VALU_DEP_1)
	v_mul_u64_e32 v[10:11], s[76:77], v[0:1]
	v_ashrrev_i32_e32 v10, 31, v16
	v_xor_b32_e32 v30, s96, v10
	s_delay_alu instid0(VALU_DEP_3) | instskip(NEXT) | instid1(VALU_DEP_1)
	v_mul_lo_u32 v4, v11, s93
	v_dual_sub_nc_u32 v18, v0, v4 :: v_dual_max_i32 v0, v17, v5
	v_sub_nc_u32_e32 v5, 0, v14
	s_delay_alu instid0(VALU_DEP_2) | instskip(NEXT) | instid1(VALU_DEP_1)
	v_mul_u64_e32 v[8:9], s[78:79], v[0:1]
	v_mul_lo_u32 v4, v9, s94
	s_delay_alu instid0(VALU_DEP_1) | instskip(NEXT) | instid1(VALU_DEP_1)
	v_dual_sub_nc_u32 v8, v0, v4 :: v_dual_max_i32 v0, v14, v5
	v_mul_u64_e32 v[4:5], s[76:77], v[0:1]
	v_mul_lo_u32 v4, s0, v70
	v_readlane_b32 s0, v126, 15
	s_delay_alu instid0(VALU_DEP_1) | instskip(SKIP_1) | instid1(VALU_DEP_2)
	v_subrev_nc_u32_e32 v20, s0, v15
	v_readlane_b32 s0, v126, 12
	v_dual_ashrrev_i32 v35, 31, v20 :: v_dual_sub_nc_u32 v31, 0, v20
	s_delay_alu instid0(VALU_DEP_2) | instskip(SKIP_1) | instid1(VALU_DEP_2)
	v_subrev_nc_u32_e32 v46, s0, v17
	v_readlane_b32 s0, v126, 13
	v_dual_ashrrev_i32 v37, 31, v46 :: v_dual_sub_nc_u32 v21, 0, v46
	s_delay_alu instid0(VALU_DEP_2) | instskip(SKIP_1) | instid1(VALU_DEP_2)
	v_subrev_nc_u32_e32 v64, s0, v17
	v_readlane_b32 s0, v126, 5
	v_dual_ashrrev_i32 v38, 31, v64 :: v_dual_sub_nc_u32 v23, 0, v64
	s_delay_alu instid0(VALU_DEP_2) | instskip(SKIP_3) | instid1(VALU_DEP_1)
	v_mul_lo_u32 v10, s0, v71
	v_readlane_b32 s0, v126, 2
	v_readlane_b32 s1, v126, 3
	v_mul_lo_u32 v7, v5, s93
	v_dual_add_nc_u32 v12, 1, v13 :: v_dual_sub_nc_u32 v32, v0, v7
	v_dual_ashrrev_i32 v7, 31, v6 :: v_dual_max_i32 v0, v24, v25
	v_subrev_nc_u32_e32 v25, s91, v19
	s_delay_alu instid0(VALU_DEP_3) | instskip(NEXT) | instid1(VALU_DEP_3)
	v_dual_cndmask_b32 v39, v13, v12, vcc_lo :: v_dual_bitop2_b32 v29, s96, v27 bitop3:0x14
	v_mul_u64_e32 v[12:13], s[76:77], v[0:1]
	s_delay_alu instid0(VALU_DEP_3) | instskip(NEXT) | instid1(VALU_DEP_3)
	v_dual_cndmask_b32 v25, v19, v25, vcc_lo :: v_dual_bitop2_b32 v12, s96, v34 bitop3:0x14
	v_dual_add_nc_u32 v34, 1, v39 :: v_dual_bitop2_b32 v19, s2, v36 bitop3:0x14
	v_subrev_nc_u32_e32 v36, s93, v18
	v_lshl_add_u64 v[6:7], v[6:7], 1, s[0:1]
	s_delay_alu instid0(VALU_DEP_4)
	v_cmp_le_u32_e32 vcc_lo, s91, v25
	v_xor_b32_e32 v27, s2, v35
	v_add_nc_u32_e32 v35, 1, v11
	v_readlane_b32 s0, v126, 8
	v_dual_cndmask_b32 v34, v39, v34, vcc_lo :: v_dual_bitop2_b32 v25, s97, v37 bitop3:0x14
	v_cmp_le_u32_e32 vcc_lo, s93, v18
	v_xor_b32_e32 v48, s97, v38
	v_subrev_nc_u32_e32 v37, s94, v8
	v_readlane_b32 s1, v126, 9
	v_dual_cndmask_b32 v35, v11, v35 :: v_dual_cndmask_b32 v18, v18, v36
	s_delay_alu instid0(VALU_DEP_1) | instskip(NEXT) | instid1(VALU_DEP_2)
	v_dual_add_nc_u32 v36, 1, v35 :: v_dual_bitop2_b32 v34, v34, v33 bitop3:0x14
	v_cmp_le_u32_e32 vcc_lo, s93, v18
	s_delay_alu instid0(VALU_DEP_2) | instskip(NEXT) | instid1(VALU_DEP_3)
	v_dual_ashrrev_i32 v11, 31, v10 :: v_dual_sub_nc_u32 v47, v34, v33
	v_dual_add_nc_u32 v33, 1, v9 :: v_dual_cndmask_b32 v35, v35, v36, vcc_lo
	v_cmp_le_u32_e32 vcc_lo, s94, v8
	s_delay_alu instid0(VALU_DEP_3) | instskip(SKIP_1) | instid1(VALU_DEP_4)
	v_mul_lo_u32 v18, v47, s50
	v_cmp_gt_i32_e64 s17, s49, v47
	v_dual_cndmask_b32 v34, v9, v33, vcc_lo :: v_dual_bitop2_b32 v36, v35, v30 bitop3:0x14
	v_mul_lo_u32 v33, v47, s36
	v_mul_lo_u32 v35, v13, s93
	v_cndmask_b32_e32 v37, v8, v37, vcc_lo
	v_lshl_add_u64 v[8:9], v[10:11], 1, s[0:1]
	v_add_nc_u32_e32 v38, 1, v34
	s_delay_alu instid0(VALU_DEP_3) | instskip(SKIP_1) | instid1(VALU_DEP_3)
	v_cmp_le_u32_e32 vcc_lo, s94, v37
	v_cmp_eq_u32_e64 s1, v33, v15
	v_dual_cndmask_b32 v10, v34, v38 :: v_dual_sub_nc_u32 v33, v0, v35
	v_sub_nc_u32_e32 v49, v36, v30
	v_max_i32_e32 v0, v20, v31
	v_cmp_le_u32_e32 vcc_lo, s93, v32
	s_delay_alu instid0(VALU_DEP_4)
	v_xor_b32_e32 v10, v10, v28
	v_cmp_le_u32_e64 s0, s93, v33
	v_add_nc_u32_e32 v15, v49, v18
	v_mul_u64_e32 v[30:31], s[74:75], v[0:1]
	v_mul_lo_u32 v11, v49, s37
	v_sub_nc_u32_e32 v28, v10, v28
	v_subrev_nc_u32_e32 v10, s93, v32
	v_mul_lo_u32 v50, v15, s51
	v_add_nc_u32_e32 v15, 1, v5
	v_cmp_gt_i32_e64 s18, s50, v49
	v_or_b32_e32 v30, v28, v49
	v_cmp_gt_i32_e64 s2, s51, v28
	s_delay_alu instid0(VALU_DEP_4) | instskip(SKIP_2) | instid1(VALU_DEP_3)
	v_dual_cndmask_b32 v5, v5, v15 :: v_dual_cndmask_b32 v10, v32, v10
	v_cmp_eq_u32_e64 s5, v11, v16
	v_mul_lo_u32 v11, v28, s38
	v_dual_add_nc_u32 v15, 1, v5 :: v_dual_bitop2_b32 v16, v30, v47 bitop3:0x54
	s_delay_alu instid0(VALU_DEP_4)
	v_cmp_le_u32_e32 vcc_lo, s93, v10
	v_add_nc_u32_e32 v10, v28, v50
	s_and_b32 s12, s2, s18
	s_and_b32 s82, s1, s5
	v_cndmask_b32_e32 v5, v5, v15, vcc_lo
	v_cmp_lt_i32_e32 vcc_lo, -1, v16
	v_subrev_nc_u32_e32 v16, s93, v33
	v_cmp_eq_u32_e64 s7, v11, v17
	v_dual_ashrrev_i32 v11, 31, v10 :: v_dual_add_nc_u32 v15, 1, v13
	s_and_b32 s3, s12, vcc_lo
	v_cndmask_b32_e64 v16, v33, v16, s0
	s_and_b32 s100, s3, s17
	s_and_b32 vcc_lo, s82, s7
	v_mul_lo_u32 v32, v31, s91
	v_xor_b32_e32 v5, v5, v29
	s_delay_alu instid0(VALU_DEP_1) | instskip(SKIP_2) | instid1(VALU_DEP_3)
	v_sub_nc_u32_e32 v5, v5, v29
	v_cndmask_b32_e64 v13, v13, v15, s0
	v_cmp_le_u32_e64 s0, s93, v16
	v_mul_lo_u32 v15, v5, s37
	s_delay_alu instid0(VALU_DEP_1) | instskip(SKIP_4) | instid1(VALU_DEP_4)
	v_cmp_eq_u32_e64 s6, v15, v14
	v_dual_sub_nc_u32 v14, v0, v32 :: v_dual_max_i32 v0, v22, v26
	v_or_b32_e32 v29, v28, v5
	v_dual_add_nc_u32 v17, 1, v13 :: v_dual_add_nc_u32 v33, v5, v18
	v_cmp_gt_i32_e64 s19, s50, v5
	v_subrev_nc_u32_e32 v15, s91, v14
	s_and_b32 s66, s1, s6
	v_mul_lo_u32 v51, v33, s51
	v_cndmask_b32_e64 v13, v13, v17, s0
	v_mul_u64_e32 v[16:17], s[74:75], v[0:1]
	s_and_b32 s13, s2, s19
	s_delay_alu instid0(VALU_DEP_2) | instskip(NEXT) | instid1(VALU_DEP_1)
	v_xor_b32_e32 v13, v13, v12
	v_dual_sub_nc_u32 v52, v13, v12 :: v_dual_add_nc_u32 v13, 1, v31
	v_or_b32_e32 v34, v29, v47
	v_add_nc_u32_e32 v12, v28, v51
	s_delay_alu instid0(VALU_DEP_3) | instskip(SKIP_1) | instid1(VALU_DEP_4)
	v_add_nc_u32_e32 v18, v52, v18
	v_mul_lo_u32 v16, v52, s37
	v_cmp_lt_i32_e64 s0, -1, v34
	v_cmp_gt_i32_e64 s20, s50, v52
	s_delay_alu instid0(VALU_DEP_4)
	v_mul_lo_u32 v53, v18, s51
	s_and_b32 s3, s13, s0
	v_cmp_le_u32_e64 s0, s91, v14
	s_and_b32 s101, s3, s17
	s_and_b32 s14, s2, s20
	v_cmp_eq_u32_e64 s8, v16, v24
	v_dual_cndmask_b32 v13, v31, v13, s0 :: v_dual_bitop2_b32 v31, v28, v52 bitop3:0x54
	v_cndmask_b32_e64 v14, v14, v15, s0
	s_and_b32 s67, s1, s8
	s_delay_alu instid0(VALU_DEP_2) | instskip(NEXT) | instid1(VALU_DEP_2)
	v_dual_add_nc_u32 v15, 1, v13 :: v_dual_bitop2_b32 v26, v31, v47 bitop3:0x54
	v_cmp_le_u32_e64 s0, s91, v14
	v_add_nc_u32_e32 v14, v28, v53
	s_and_b32 s1, s67, s7
	v_cmp_lt_i32_e64 s3, -1, v26
	v_cndmask_b32_e64 v13, v13, v15, s0
	v_mul_lo_u32 v26, v17, s91
	s_and_b32 s0, s66, s7
	s_and_b32 s2, s14, s3
	s_delay_alu instid0(VALU_DEP_2) | instskip(SKIP_1) | instid1(VALU_DEP_1)
	v_dual_ashrrev_i32 v13, 31, v12 :: v_dual_bitop2_b32 v15, v13, v27 bitop3:0x14
	s_and_b32 s102, s2, s17
	v_dual_sub_nc_u32 v54, v15, v27 :: v_dual_ashrrev_i32 v15, 31, v14
	s_delay_alu instid0(VALU_DEP_1)
	v_mul_lo_u32 v27, v54, s36
	v_or_b32_e32 v18, v31, v54
	v_mul_lo_u32 v32, v54, s50
	v_or_b32_e32 v16, v30, v54
	v_or_b32_e32 v24, v29, v54
	v_cmp_gt_i32_e64 s27, s49, v54
	s_delay_alu instid0(VALU_DEP_3)
	v_cmp_lt_i32_e64 s2, -1, v16
	v_add_nc_u32_e32 v16, 1, v17
	v_cmp_lt_i32_e64 s3, -1, v18
	v_dual_sub_nc_u32 v18, v0, v26 :: v_dual_max_i32 v0, v46, v21
	s_and_b32 s9, s12, s2
	v_cmp_eq_u32_e64 s2, v27, v20
	s_and_b32 s10, s14, s3
	v_add_nc_u32_e32 v21, v52, v32
	v_mul_u64_e32 v[26:27], s[78:79], v[0:1]
	v_subrev_nc_u32_e32 v26, s91, v18
	v_cmp_le_u32_e64 s3, s91, v18
	v_cmp_lt_i32_e64 s4, -1, v24
	v_add_nc_u32_e32 v24, v5, v32
	v_mul_lo_u32 v55, v21, s51
	v_add_nc_u32_e32 v20, v49, v32
	v_dual_cndmask_b32 v16, v17, v16, s3 :: v_dual_cndmask_b32 v17, v18, v26, s3
	s_delay_alu instid0(VALU_DEP_4) | instskip(SKIP_1) | instid1(VALU_DEP_3)
	v_mul_lo_u32 v57, v24, s51
	s_and_b32 s103, s9, s27
	v_mul_lo_u32 v58, v20, s51
	s_delay_alu instid0(VALU_DEP_3)
	v_add_nc_u32_e32 v18, 1, v16
	v_cmp_le_u32_e64 s3, s91, v17
	s_and_b32 s104, s10, s27
	s_and_b32 s89, s2, s5
	;; [unrolled: 1-line block ×4, first 2 shown]
	v_cndmask_b32_e64 v16, v16, v18, s3
	v_dual_add_nc_u32 v18, v28, v55 :: v_dual_add_nc_u32 v20, v28, v57
	s_and_b32 s92, s2, s6
	s_and_b32 vcc_hi, s4, s27
	s_delay_alu instid0(VALU_DEP_2) | instskip(NEXT) | instid1(VALU_DEP_2)
	v_xor_b32_e32 v17, v16, v19
	v_dual_add_nc_u32 v16, v28, v58 :: v_dual_ashrrev_i32 v21, 31, v20
	s_and_b32 s2, s89, s7
	s_and_b32 s3, s90, s7
	s_delay_alu instid0(VALU_DEP_1) | instskip(SKIP_3) | instid1(VALU_DEP_3)
	v_dual_sub_nc_u32 v56, v17, v19 :: v_dual_ashrrev_i32 v17, 31, v16
	v_ashrrev_i32_e32 v19, 31, v18
	s_and_b32 s4, s92, s7
	v_mul_lo_u32 v32, v27, s94
	v_mul_lo_u32 v24, v56, s36
	v_or_b32_e32 v26, v30, v56
	v_or_b32_e32 v30, v31, v56
	v_mul_lo_u32 v31, v56, s50
	v_cmp_gt_i32_e64 s28, s49, v56
	s_delay_alu instid0(VALU_DEP_4)
	v_cmp_lt_i32_e64 s9, -1, v26
	v_dual_add_nc_u32 v26, 1, v27 :: v_dual_sub_nc_u32 v0, v0, v32
	s_and_b32 s12, s12, s9
	v_cmp_eq_u32_e64 s9, v24, v22
	s_and_b32 s58, s12, s28
	v_add_nc_u32_e32 v24, v52, v31
	v_cmp_lt_i32_e64 s10, -1, v30
	v_add_nc_u32_e32 v22, v49, v31
	s_and_b32 s68, s9, s5
	s_and_b32 s69, s9, s8
	v_mul_lo_u32 v62, v24, s51
	s_and_b32 s10, s14, s10
	v_mul_lo_u32 v59, v22, s51
	s_and_b32 s59, s10, s28
	v_cmp_le_u32_e64 s10, s94, v0
	v_or_b32_e32 v29, v29, v56
	s_and_b32 s70, s9, s6
	s_and_b32 s6, s69, s7
	v_cndmask_b32_e64 v26, v27, v26, s10
	s_delay_alu instid0(VALU_DEP_2) | instskip(SKIP_2) | instid1(VALU_DEP_4)
	v_cmp_lt_i32_e64 s11, -1, v29
	v_add_nc_u32_e32 v29, v5, v31
	v_subrev_nc_u32_e32 v30, s94, v0
	v_add_nc_u32_e32 v27, 1, v26
	s_and_b32 s11, s13, s11
	s_delay_alu instid0(VALU_DEP_3) | instskip(NEXT) | instid1(VALU_DEP_3)
	v_mul_lo_u32 v63, v29, s51
	v_cndmask_b32_e64 v0, v0, v30, s10
	v_add_nc_u32_e32 v24, v28, v62
	s_and_b32 s48, s11, s28
	s_delay_alu instid0(VALU_DEP_2) | instskip(SKIP_1) | instid1(VALU_DEP_2)
	v_cmp_le_u32_e64 s5, s94, v0
	v_max_i32_e32 v0, v64, v23
	v_cndmask_b32_e64 v22, v26, v27, s5
	s_delay_alu instid0(VALU_DEP_2) | instskip(SKIP_4) | instid1(VALU_DEP_1)
	v_mul_u64_e32 v[60:61], s[78:79], v[0:1]
	v_add_nc_u32_e32 v26, v28, v63
	s_and_b32 s5, s68, s7
	s_and_b32 s7, s70, s7
	v_dual_add_nc_u32 v22, v28, v59 :: v_dual_bitop2_b32 v23, v22, v25 bitop3:0x14
	v_dual_ashrrev_i32 v27, 31, v26 :: v_dual_sub_nc_u32 v29, v23, v25
	s_delay_alu instid0(VALU_DEP_2) | instskip(NEXT) | instid1(VALU_DEP_2)
	v_dual_ashrrev_i32 v23, 31, v22 :: v_dual_ashrrev_i32 v25, 31, v24
	v_dual_add_nc_u32 v28, v29, v50 :: v_dual_bitop2_b32 v31, v29, v5 bitop3:0x54
	v_dual_add_nc_u32 v30, v29, v53 :: v_dual_bitop2_b32 v33, v29, v52 bitop3:0x54
	;; [unrolled: 1-line block ×3, first 2 shown]
	s_delay_alu instid0(VALU_DEP_3) | instskip(NEXT) | instid1(VALU_DEP_3)
	v_dual_add_nc_u32 v44, v29, v57 :: v_dual_bitop2_b32 v40, v31, v47 bitop3:0x54
	v_or_b32_e32 v42, v33, v56
	s_delay_alu instid0(VALU_DEP_3) | instskip(SKIP_1) | instid1(VALU_DEP_4)
	v_or_b32_e32 v37, v35, v47
	v_mul_lo_u32 v60, v29, s38
	v_cmp_lt_i32_e64 s11, -1, v40
	v_add_nc_u32_e32 v40, v29, v58
	v_or_b32_e32 v74, v31, v54
	v_cmp_lt_i32_e64 s9, -1, v37
	v_dual_ashrrev_i32 v31, 31, v30 :: v_dual_bitop2_b32 v37, v31, v56 bitop3:0x54
	v_cmp_lt_i32_e64 s13, -1, v42
	v_mul_lo_u32 v75, v61, s94
	v_add_nc_u32_e32 v42, v29, v55
	v_cmp_gt_i32_e64 s8, s51, v29
	v_dual_add_nc_u32 v34, v29, v59 :: v_dual_add_nc_u32 v36, v29, v62
	v_dual_add_nc_u32 v38, v29, v63 :: v_dual_bitop2_b32 v41, v35, v56 bitop3:0x54
	v_dual_ashrrev_i32 v29, 31, v28 :: v_dual_bitop2_b32 v39, v33, v47 bitop3:0x54
	v_or_b32_e32 v65, v33, v54
	v_dual_ashrrev_i32 v43, 31, v42 :: v_dual_sub_nc_u32 v0, v0, v75
	s_and_b32 s24, s8, s19
	s_delay_alu instid0(VALU_DEP_3)
	v_cmp_lt_i32_e64 s10, -1, v39
	v_cmp_lt_i32_e64 s14, -1, v37
	v_dual_ashrrev_i32 v37, 31, v36 :: v_dual_ashrrev_i32 v39, 31, v38
	v_cmp_lt_i32_e64 s15, -1, v65
	v_add_nc_u32_e32 v65, 1, v61
	v_cmp_eq_u32_e64 s21, v60, v46
	s_and_b32 s29, s24, s11
	v_subrev_nc_u32_e32 v46, s94, v0
	v_cmp_le_u32_e64 s11, s94, v0
	s_and_b32 s63, s24, s14
	v_dual_ashrrev_i32 v33, 31, v32 :: v_dual_bitop2_b32 v45, v35, v54 bitop3:0x54
	v_cmp_lt_i32_e64 s12, -1, v41
	v_dual_cndmask_b32 v60, v61, v65, s11 :: v_dual_cndmask_b32 v0, v0, v46, s11
	v_ashrrev_i32_e32 v41, 31, v40
	v_cmp_lt_i32_e64 s16, -1, v74
	s_and_b32 s22, s8, s18
	v_add_nc_u32_e32 v46, 1, v60
	v_cmp_le_u32_e64 s14, s94, v0
	s_and_b32 s23, s8, s20
	v_cmp_lt_i32_e64 s8, -1, v45
	s_and_b32 s25, s22, s9
	s_and_b32 s26, s23, s10
	v_cndmask_b32_e64 v0, v60, v46, s14
	s_and_b32 s44, s22, s12
	s_and_b32 s62, s23, s13
	s_and_b32 s22, s22, s8
	s_and_b32 s23, s23, s15
	v_xor_b32_e32 v0, v0, v48
	s_and_b32 s24, s24, s16
	s_and_b32 s8, s82, s21
	;; [unrolled: 1-line block ×4, first 2 shown]
	v_sub_nc_u32_e32 v0, v0, v48
	s_and_b32 s11, s68, s21
	s_and_b32 s12, s69, s21
	;; [unrolled: 1-line block ×4, first 2 shown]
	v_or_b32_e32 v49, v0, v49
	s_and_b32 s15, s90, s21
	s_and_b32 s16, s92, s21
	;; [unrolled: 1-line block ×4, first 2 shown]
	v_or_b32_e32 v74, v49, v54
	v_dual_add_nc_u32 v46, v0, v50 :: v_dual_bitop2_b32 v5, v0, v5 bitop3:0x54
	v_dual_add_nc_u32 v48, v0, v53 :: v_dual_bitop2_b32 v52, v0, v52 bitop3:0x54
	v_mul_lo_u32 v65, v0, s38
	s_delay_alu instid0(VALU_DEP_3) | instskip(NEXT) | instid1(VALU_DEP_3)
	v_dual_add_nc_u32 v50, v0, v51 :: v_dual_bitop2_b32 v76, v5, v54 bitop3:0x54
	v_or_b32_e32 v60, v52, v56
	v_cmp_gt_i32_e64 s21, s51, v0
	v_or_b32_e32 v53, v49, v56
	v_or_b32_e32 v49, v49, v47
	v_or_b32_e32 v75, v52, v54
	v_or_b32_e32 v61, v52, v47
	v_dual_add_nc_u32 v52, v0, v59 :: v_dual_bitop2_b32 v77, v5, v56 bitop3:0x54
	v_dual_add_nc_u32 v58, v0, v58 :: v_dual_bitop2_b32 v5, v5, v47 bitop3:0x54
	v_dual_add_nc_u32 v54, v0, v62 :: v_dual_add_nc_u32 v56, v0, v63
	v_dual_add_nc_u32 v62, v0, v57 :: v_dual_ashrrev_i32 v51, 31, v50
	v_cmp_lt_i32_e64 s26, -1, v60
	s_delay_alu instid0(VALU_DEP_3)
	v_dual_add_nc_u32 v60, v0, v55 :: v_dual_ashrrev_i32 v55, 31, v54
	s_and_b32 s84, s44, s28
	s_and_b32 s88, s62, s28
	;; [unrolled: 1-line block ×6, first 2 shown]
	v_cmp_lt_i32_e64 s22, -1, v49
	v_cmp_lt_i32_e64 s24, -1, v5
	;; [unrolled: 1-line block ×3, first 2 shown]
	s_and_b32 s71, s21, s18
	s_and_b32 s72, s21, s20
	;; [unrolled: 1-line block ×3, first 2 shown]
	v_ashrrev_i32_e32 v49, 31, v48
	v_ashrrev_i32_e32 v53, 31, v52
	v_cmp_lt_i32_e64 s23, -1, v61
	v_cmp_lt_i32_e64 s18, -1, v74
	;; [unrolled: 1-line block ×5, first 2 shown]
	s_and_b32 s83, s29, s17
	v_cmp_eq_u32_e64 s29, v65, v64
	v_dual_ashrrev_i32 v35, 31, v34 :: v_dual_ashrrev_i32 v45, 31, v44
	v_dual_ashrrev_i32 v47, 31, v46 :: v_dual_ashrrev_i32 v57, 31, v56
	;; [unrolled: 1-line block ×3, first 2 shown]
	v_ashrrev_i32_e32 v63, 31, v62
	s_and_b32 s34, s71, s22
	s_and_b32 s35, s71, s25
	;; [unrolled: 1-line block ×27, first 2 shown]
	s_branch .LBB30_7
.LBB30_6:                               ;   in Loop: Header=BB30_7 Depth=2
	s_wait_xcnt 0x0
	s_or_b32 exec_lo, exec_lo, s17
	s_wait_loadcnt 0x1a
	v_lshlrev_b32_e32 v0, 16, v0
	v_add_nc_u64_e32 v[8:9], 54, v[8:9]
	s_wait_loadcnt 0x18
	v_dual_lshlrev_b32 v64, 16, v77 :: v_dual_add_nc_u32 v71, 1, v71
	v_add_nc_u32_e32 v4, s61, v4
	v_dual_fma_f32 v0, v5, v0, v72 :: v_dual_lshlrev_b32 v5, 16, v75
	s_delay_alu instid0(VALU_DEP_3) | instskip(NEXT) | instid1(VALU_DEP_2)
	v_cmp_ge_i32_e64 s17, v71, v73
	v_cndmask_b32_e32 v0, v72, v0, vcc_lo
	s_or_b32 s99, s17, s99
	s_delay_alu instid0(VALU_DEP_1) | instskip(NEXT) | instid1(VALU_DEP_1)
	v_fma_f32 v5, v76, v5, v0
	v_cndmask_b32_e64 v0, v0, v5, s8
	s_wait_loadcnt 0x17
	s_delay_alu instid0(VALU_DEP_1) | instskip(NEXT) | instid1(VALU_DEP_1)
	v_dual_fma_f32 v5, v74, v64, v0 :: v_dual_lshlrev_b32 v64, 16, v79
	v_cndmask_b32_e64 v0, v0, v5, s18
	s_wait_loadcnt 0x16
	s_delay_alu instid0(VALU_DEP_1) | instskip(NEXT) | instid1(VALU_DEP_1)
	v_dual_fma_f32 v5, v80, v64, v0 :: v_dual_lshlrev_b32 v64, 16, v81
	;; [unrolled: 4-line block ×24, first 2 shown]
	v_cndmask_b32_e64 v0, v0, v5, s16
	s_delay_alu instid0(VALU_DEP_1) | instskip(NEXT) | instid1(VALU_DEP_1)
	v_fma_f32 v5, v122, v64, v0
	v_cndmask_b32_e64 v72, v0, v5, s26
	s_and_not1_b32 exec_lo, exec_lo, s99
	s_cbranch_execz .LBB30_2
.LBB30_7:                               ;   Parent Loop BB30_4 Depth=1
                                        ; =>  This Inner Loop Header: Depth=2
	global_load_u16 v0, v[8:9], off
	v_ashrrev_i32_e32 v5, 31, v4
	s_delay_alu instid0(VALU_DEP_1)
	v_lshl_add_u64 v[64:65], v[4:5], 1, v[6:7]
	v_mov_b32_e32 v5, 0
	s_wait_xcnt 0x0
	s_and_saveexec_b32 s17, s100
	s_cbranch_execz .LBB30_9
; %bb.8:                                ;   in Loop: Header=BB30_7 Depth=2
	v_lshl_add_u64 v[74:75], v[10:11], 1, v[64:65]
	global_load_u16 v5, v[74:75], off
	s_wait_loadcnt 0x0
	v_lshlrev_b32_e32 v5, 16, v5
.LBB30_9:                               ;   in Loop: Header=BB30_7 Depth=2
	s_wait_xcnt 0x0
	s_or_b32 exec_lo, exec_lo, s17
	global_load_u16 v75, v[8:9], off offset:2
	v_dual_mov_b32 v74, 0 :: v_dual_mov_b32 v76, 0
	s_wait_xcnt 0x0
	s_and_saveexec_b32 s17, s64
	s_cbranch_execz .LBB30_11
; %bb.10:                               ;   in Loop: Header=BB30_7 Depth=2
	v_lshl_add_u64 v[76:77], v[28:29], 1, v[64:65]
	global_load_u16 v76, v[76:77], off
	s_wait_loadcnt 0x0
	s_wait_xcnt 0x0
	v_lshlrev_b32_e32 v76, 16, v76
.LBB30_11:                              ;   in Loop: Header=BB30_7 Depth=2
	s_or_b32 exec_lo, exec_lo, s17
	global_load_u16 v77, v[8:9], off offset:4
	s_wait_xcnt 0x0
	s_and_saveexec_b32 s17, s29
	s_cbranch_execz .LBB30_13
; %bb.12:                               ;   in Loop: Header=BB30_7 Depth=2
	v_lshl_add_u64 v[78:79], v[46:47], 1, v[64:65]
	global_load_u16 v74, v[78:79], off
	s_wait_loadcnt 0x0
	v_lshlrev_b32_e32 v74, 16, v74
.LBB30_13:                              ;   in Loop: Header=BB30_7 Depth=2
	s_wait_xcnt 0x0
	s_or_b32 exec_lo, exec_lo, s17
	global_load_u16 v79, v[8:9], off offset:6
	v_dual_mov_b32 v78, 0 :: v_dual_mov_b32 v80, 0
	s_wait_xcnt 0x0
	s_and_saveexec_b32 s17, s102
	s_cbranch_execz .LBB30_15
; %bb.14:                               ;   in Loop: Header=BB30_7 Depth=2
	v_lshl_add_u64 v[80:81], v[14:15], 1, v[64:65]
	global_load_u16 v80, v[80:81], off
	s_wait_loadcnt 0x0
	s_wait_xcnt 0x0
	v_lshlrev_b32_e32 v80, 16, v80
.LBB30_15:                              ;   in Loop: Header=BB30_7 Depth=2
	s_or_b32 exec_lo, exec_lo, s17
	global_load_u16 v81, v[8:9], off offset:8
	s_wait_xcnt 0x0
	s_and_saveexec_b32 s17, s65
	s_cbranch_execz .LBB30_17
; %bb.16:                               ;   in Loop: Header=BB30_7 Depth=2
	v_lshl_add_u64 v[82:83], v[30:31], 1, v[64:65]
	global_load_u16 v78, v[82:83], off
	s_wait_loadcnt 0x0
	v_lshlrev_b32_e32 v78, 16, v78
.LBB30_17:                              ;   in Loop: Header=BB30_7 Depth=2
	;; [unrolled: 25-line block ×11, first 2 shown]
	s_wait_xcnt 0x0
	s_or_b32 exec_lo, exec_lo, s17
	global_load_u16 v119, v[8:9], off offset:46
	v_dual_mov_b32 v118, 0 :: v_dual_mov_b32 v120, 0
	s_wait_xcnt 0x0
	s_and_saveexec_b32 s17, s67
	s_cbranch_execz .LBB30_55
; %bb.54:                               ;   in Loop: Header=BB30_7 Depth=2
	v_lshl_add_u64 v[120:121], v[60:61], 1, v[64:65]
	global_load_u16 v120, v[120:121], off
	s_wait_loadcnt 0x0
	s_wait_xcnt 0x0
	v_lshlrev_b32_e32 v120, 16, v120
.LBB30_55:                              ;   in Loop: Header=BB30_7 Depth=2
	s_or_b32 exec_lo, exec_lo, s17
	global_load_u16 v121, v[8:9], off offset:48
	s_wait_xcnt 0x0
	s_and_saveexec_b32 s17, vcc_hi
	s_cbranch_execz .LBB30_57
; %bb.56:                               ;   in Loop: Header=BB30_7 Depth=2
	v_lshl_add_u64 v[122:123], v[20:21], 1, v[64:65]
	global_load_u16 v118, v[122:123], off
	s_wait_loadcnt 0x0
	v_lshlrev_b32_e32 v118, 16, v118
.LBB30_57:                              ;   in Loop: Header=BB30_7 Depth=2
	s_wait_xcnt 0x0
	s_or_b32 exec_lo, exec_lo, s17
	global_load_u16 v123, v[8:9], off offset:50
	v_dual_mov_b32 v122, 0 :: v_dual_mov_b32 v124, 0
	s_wait_xcnt 0x0
	s_and_saveexec_b32 s17, s44
	s_cbranch_execz .LBB30_59
; %bb.58:                               ;   in Loop: Header=BB30_7 Depth=2
	v_lshl_add_u64 v[124:125], v[44:45], 1, v[64:65]
	global_load_u16 v124, v[124:125], off
	s_wait_loadcnt 0x0
	s_wait_xcnt 0x0
	v_lshlrev_b32_e32 v124, 16, v124
.LBB30_59:                              ;   in Loop: Header=BB30_7 Depth=2
	s_or_b32 exec_lo, exec_lo, s17
	global_load_u16 v125, v[8:9], off offset:52
	s_wait_xcnt 0x0
	s_and_saveexec_b32 s17, s27
	s_cbranch_execz .LBB30_6
; %bb.60:                               ;   in Loop: Header=BB30_7 Depth=2
	v_lshl_add_u64 v[64:65], v[62:63], 1, v[64:65]
	global_load_u16 v64, v[64:65], off
	s_wait_loadcnt 0x0
	v_lshlrev_b32_e32 v122, 16, v64
	s_branch .LBB30_6
.LBB30_61:                              ;   in Loop: Header=BB30_4 Depth=1
	v_mov_b32_e32 v72, 0
	s_branch .LBB30_3
.LBB30_62:
	s_sendmsg sendmsg(MSG_DEALLOC_VGPRS)
	s_endpgm
	.section	.rodata,"a",@progbits
	.p2align	6, 0x0
	.amdhsa_kernel _ZN2at6native12_GLOBAL__N_143conv_depthwise3d_cuda_backward_input_kernelIN3c108BFloat16EfLi3ELi3ELi3ELin1ELin1ELin1ELin1ELin1ELin1EEEvN5torch10headeronly6detail27GenericPackedTensorAccessorINS7_14TensorAccessorINS3_8ArrayRefIlEEKT_Lm4ENS6_16DefaultPtrTraitsEiEENS_6detail16IndexBoundsCheckILm5EiEESD_Lm5ESE_iEENS8_INS9_ISB_SC_Lm4ESE_iEESI_SC_Lm5ESE_iEESJ_iiiiiiiii
		.amdhsa_group_segment_fixed_size 0
		.amdhsa_private_segment_fixed_size 0
		.amdhsa_kernarg_size 440
		.amdhsa_user_sgpr_count 2
		.amdhsa_user_sgpr_dispatch_ptr 0
		.amdhsa_user_sgpr_queue_ptr 0
		.amdhsa_user_sgpr_kernarg_segment_ptr 1
		.amdhsa_user_sgpr_dispatch_id 0
		.amdhsa_user_sgpr_kernarg_preload_length 0
		.amdhsa_user_sgpr_kernarg_preload_offset 0
		.amdhsa_user_sgpr_private_segment_size 0
		.amdhsa_wavefront_size32 1
		.amdhsa_uses_dynamic_stack 0
		.amdhsa_enable_private_segment 0
		.amdhsa_system_sgpr_workgroup_id_x 1
		.amdhsa_system_sgpr_workgroup_id_y 0
		.amdhsa_system_sgpr_workgroup_id_z 0
		.amdhsa_system_sgpr_workgroup_info 0
		.amdhsa_system_vgpr_workitem_id 0
		.amdhsa_next_free_vgpr 127
		.amdhsa_next_free_sgpr 105
		.amdhsa_named_barrier_count 0
		.amdhsa_reserve_vcc 1
		.amdhsa_float_round_mode_32 0
		.amdhsa_float_round_mode_16_64 0
		.amdhsa_float_denorm_mode_32 3
		.amdhsa_float_denorm_mode_16_64 3
		.amdhsa_fp16_overflow 0
		.amdhsa_memory_ordered 1
		.amdhsa_forward_progress 1
		.amdhsa_inst_pref_size 56
		.amdhsa_round_robin_scheduling 0
		.amdhsa_exception_fp_ieee_invalid_op 0
		.amdhsa_exception_fp_denorm_src 0
		.amdhsa_exception_fp_ieee_div_zero 0
		.amdhsa_exception_fp_ieee_overflow 0
		.amdhsa_exception_fp_ieee_underflow 0
		.amdhsa_exception_fp_ieee_inexact 0
		.amdhsa_exception_int_div_zero 0
	.end_amdhsa_kernel
	.section	.text._ZN2at6native12_GLOBAL__N_143conv_depthwise3d_cuda_backward_input_kernelIN3c108BFloat16EfLi3ELi3ELi3ELin1ELin1ELin1ELin1ELin1ELin1EEEvN5torch10headeronly6detail27GenericPackedTensorAccessorINS7_14TensorAccessorINS3_8ArrayRefIlEEKT_Lm4ENS6_16DefaultPtrTraitsEiEENS_6detail16IndexBoundsCheckILm5EiEESD_Lm5ESE_iEENS8_INS9_ISB_SC_Lm4ESE_iEESI_SC_Lm5ESE_iEESJ_iiiiiiiii,"axG",@progbits,_ZN2at6native12_GLOBAL__N_143conv_depthwise3d_cuda_backward_input_kernelIN3c108BFloat16EfLi3ELi3ELi3ELin1ELin1ELin1ELin1ELin1ELin1EEEvN5torch10headeronly6detail27GenericPackedTensorAccessorINS7_14TensorAccessorINS3_8ArrayRefIlEEKT_Lm4ENS6_16DefaultPtrTraitsEiEENS_6detail16IndexBoundsCheckILm5EiEESD_Lm5ESE_iEENS8_INS9_ISB_SC_Lm4ESE_iEESI_SC_Lm5ESE_iEESJ_iiiiiiiii,comdat
.Lfunc_end30:
	.size	_ZN2at6native12_GLOBAL__N_143conv_depthwise3d_cuda_backward_input_kernelIN3c108BFloat16EfLi3ELi3ELi3ELin1ELin1ELin1ELin1ELin1ELin1EEEvN5torch10headeronly6detail27GenericPackedTensorAccessorINS7_14TensorAccessorINS3_8ArrayRefIlEEKT_Lm4ENS6_16DefaultPtrTraitsEiEENS_6detail16IndexBoundsCheckILm5EiEESD_Lm5ESE_iEENS8_INS9_ISB_SC_Lm4ESE_iEESI_SC_Lm5ESE_iEESJ_iiiiiiiii, .Lfunc_end30-_ZN2at6native12_GLOBAL__N_143conv_depthwise3d_cuda_backward_input_kernelIN3c108BFloat16EfLi3ELi3ELi3ELin1ELin1ELin1ELin1ELin1ELin1EEEvN5torch10headeronly6detail27GenericPackedTensorAccessorINS7_14TensorAccessorINS3_8ArrayRefIlEEKT_Lm4ENS6_16DefaultPtrTraitsEiEENS_6detail16IndexBoundsCheckILm5EiEESD_Lm5ESE_iEENS8_INS9_ISB_SC_Lm4ESE_iEESI_SC_Lm5ESE_iEESJ_iiiiiiiii
                                        ; -- End function
	.set _ZN2at6native12_GLOBAL__N_143conv_depthwise3d_cuda_backward_input_kernelIN3c108BFloat16EfLi3ELi3ELi3ELin1ELin1ELin1ELin1ELin1ELin1EEEvN5torch10headeronly6detail27GenericPackedTensorAccessorINS7_14TensorAccessorINS3_8ArrayRefIlEEKT_Lm4ENS6_16DefaultPtrTraitsEiEENS_6detail16IndexBoundsCheckILm5EiEESD_Lm5ESE_iEENS8_INS9_ISB_SC_Lm4ESE_iEESI_SC_Lm5ESE_iEESJ_iiiiiiiii.num_vgpr, 127
	.set _ZN2at6native12_GLOBAL__N_143conv_depthwise3d_cuda_backward_input_kernelIN3c108BFloat16EfLi3ELi3ELi3ELin1ELin1ELin1ELin1ELin1ELin1EEEvN5torch10headeronly6detail27GenericPackedTensorAccessorINS7_14TensorAccessorINS3_8ArrayRefIlEEKT_Lm4ENS6_16DefaultPtrTraitsEiEENS_6detail16IndexBoundsCheckILm5EiEESD_Lm5ESE_iEENS8_INS9_ISB_SC_Lm4ESE_iEESI_SC_Lm5ESE_iEESJ_iiiiiiiii.num_agpr, 0
	.set _ZN2at6native12_GLOBAL__N_143conv_depthwise3d_cuda_backward_input_kernelIN3c108BFloat16EfLi3ELi3ELi3ELin1ELin1ELin1ELin1ELin1ELin1EEEvN5torch10headeronly6detail27GenericPackedTensorAccessorINS7_14TensorAccessorINS3_8ArrayRefIlEEKT_Lm4ENS6_16DefaultPtrTraitsEiEENS_6detail16IndexBoundsCheckILm5EiEESD_Lm5ESE_iEENS8_INS9_ISB_SC_Lm4ESE_iEESI_SC_Lm5ESE_iEESJ_iiiiiiiii.numbered_sgpr, 105
	.set _ZN2at6native12_GLOBAL__N_143conv_depthwise3d_cuda_backward_input_kernelIN3c108BFloat16EfLi3ELi3ELi3ELin1ELin1ELin1ELin1ELin1ELin1EEEvN5torch10headeronly6detail27GenericPackedTensorAccessorINS7_14TensorAccessorINS3_8ArrayRefIlEEKT_Lm4ENS6_16DefaultPtrTraitsEiEENS_6detail16IndexBoundsCheckILm5EiEESD_Lm5ESE_iEENS8_INS9_ISB_SC_Lm4ESE_iEESI_SC_Lm5ESE_iEESJ_iiiiiiiii.num_named_barrier, 0
	.set _ZN2at6native12_GLOBAL__N_143conv_depthwise3d_cuda_backward_input_kernelIN3c108BFloat16EfLi3ELi3ELi3ELin1ELin1ELin1ELin1ELin1ELin1EEEvN5torch10headeronly6detail27GenericPackedTensorAccessorINS7_14TensorAccessorINS3_8ArrayRefIlEEKT_Lm4ENS6_16DefaultPtrTraitsEiEENS_6detail16IndexBoundsCheckILm5EiEESD_Lm5ESE_iEENS8_INS9_ISB_SC_Lm4ESE_iEESI_SC_Lm5ESE_iEESJ_iiiiiiiii.private_seg_size, 0
	.set _ZN2at6native12_GLOBAL__N_143conv_depthwise3d_cuda_backward_input_kernelIN3c108BFloat16EfLi3ELi3ELi3ELin1ELin1ELin1ELin1ELin1ELin1EEEvN5torch10headeronly6detail27GenericPackedTensorAccessorINS7_14TensorAccessorINS3_8ArrayRefIlEEKT_Lm4ENS6_16DefaultPtrTraitsEiEENS_6detail16IndexBoundsCheckILm5EiEESD_Lm5ESE_iEENS8_INS9_ISB_SC_Lm4ESE_iEESI_SC_Lm5ESE_iEESJ_iiiiiiiii.uses_vcc, 1
	.set _ZN2at6native12_GLOBAL__N_143conv_depthwise3d_cuda_backward_input_kernelIN3c108BFloat16EfLi3ELi3ELi3ELin1ELin1ELin1ELin1ELin1ELin1EEEvN5torch10headeronly6detail27GenericPackedTensorAccessorINS7_14TensorAccessorINS3_8ArrayRefIlEEKT_Lm4ENS6_16DefaultPtrTraitsEiEENS_6detail16IndexBoundsCheckILm5EiEESD_Lm5ESE_iEENS8_INS9_ISB_SC_Lm4ESE_iEESI_SC_Lm5ESE_iEESJ_iiiiiiiii.uses_flat_scratch, 0
	.set _ZN2at6native12_GLOBAL__N_143conv_depthwise3d_cuda_backward_input_kernelIN3c108BFloat16EfLi3ELi3ELi3ELin1ELin1ELin1ELin1ELin1ELin1EEEvN5torch10headeronly6detail27GenericPackedTensorAccessorINS7_14TensorAccessorINS3_8ArrayRefIlEEKT_Lm4ENS6_16DefaultPtrTraitsEiEENS_6detail16IndexBoundsCheckILm5EiEESD_Lm5ESE_iEENS8_INS9_ISB_SC_Lm4ESE_iEESI_SC_Lm5ESE_iEESJ_iiiiiiiii.has_dyn_sized_stack, 0
	.set _ZN2at6native12_GLOBAL__N_143conv_depthwise3d_cuda_backward_input_kernelIN3c108BFloat16EfLi3ELi3ELi3ELin1ELin1ELin1ELin1ELin1ELin1EEEvN5torch10headeronly6detail27GenericPackedTensorAccessorINS7_14TensorAccessorINS3_8ArrayRefIlEEKT_Lm4ENS6_16DefaultPtrTraitsEiEENS_6detail16IndexBoundsCheckILm5EiEESD_Lm5ESE_iEENS8_INS9_ISB_SC_Lm4ESE_iEESI_SC_Lm5ESE_iEESJ_iiiiiiiii.has_recursion, 0
	.set _ZN2at6native12_GLOBAL__N_143conv_depthwise3d_cuda_backward_input_kernelIN3c108BFloat16EfLi3ELi3ELi3ELin1ELin1ELin1ELin1ELin1ELin1EEEvN5torch10headeronly6detail27GenericPackedTensorAccessorINS7_14TensorAccessorINS3_8ArrayRefIlEEKT_Lm4ENS6_16DefaultPtrTraitsEiEENS_6detail16IndexBoundsCheckILm5EiEESD_Lm5ESE_iEENS8_INS9_ISB_SC_Lm4ESE_iEESI_SC_Lm5ESE_iEESJ_iiiiiiiii.has_indirect_call, 0
	.section	.AMDGPU.csdata,"",@progbits
; Kernel info:
; codeLenInByte = 7124
; TotalNumSgprs: 107
; NumVgprs: 127
; ScratchSize: 0
; MemoryBound: 0
; FloatMode: 240
; IeeeMode: 1
; LDSByteSize: 0 bytes/workgroup (compile time only)
; SGPRBlocks: 0
; VGPRBlocks: 7
; NumSGPRsForWavesPerEU: 107
; NumVGPRsForWavesPerEU: 127
; NamedBarCnt: 0
; Occupancy: 8
; WaveLimiterHint : 0
; COMPUTE_PGM_RSRC2:SCRATCH_EN: 0
; COMPUTE_PGM_RSRC2:USER_SGPR: 2
; COMPUTE_PGM_RSRC2:TRAP_HANDLER: 0
; COMPUTE_PGM_RSRC2:TGID_X_EN: 1
; COMPUTE_PGM_RSRC2:TGID_Y_EN: 0
; COMPUTE_PGM_RSRC2:TGID_Z_EN: 0
; COMPUTE_PGM_RSRC2:TIDIG_COMP_CNT: 0
	.section	.text._ZN2at6native12_GLOBAL__N_143conv_depthwise3d_cuda_backward_input_kernelIN3c108BFloat16EfLin1ELin1ELin1ELin1ELin1ELin1ELin1ELin1ELin1EEEvN5torch10headeronly6detail27GenericPackedTensorAccessorINS7_14TensorAccessorINS3_8ArrayRefIlEEKT_Lm4ENS6_16DefaultPtrTraitsEiEENS_6detail16IndexBoundsCheckILm5EiEESD_Lm5ESE_iEENS8_INS9_ISB_SC_Lm4ESE_iEESI_SC_Lm5ESE_iEESJ_iiiiiiiii,"axG",@progbits,_ZN2at6native12_GLOBAL__N_143conv_depthwise3d_cuda_backward_input_kernelIN3c108BFloat16EfLin1ELin1ELin1ELin1ELin1ELin1ELin1ELin1ELin1EEEvN5torch10headeronly6detail27GenericPackedTensorAccessorINS7_14TensorAccessorINS3_8ArrayRefIlEEKT_Lm4ENS6_16DefaultPtrTraitsEiEENS_6detail16IndexBoundsCheckILm5EiEESD_Lm5ESE_iEENS8_INS9_ISB_SC_Lm4ESE_iEESI_SC_Lm5ESE_iEESJ_iiiiiiiii,comdat
	.globl	_ZN2at6native12_GLOBAL__N_143conv_depthwise3d_cuda_backward_input_kernelIN3c108BFloat16EfLin1ELin1ELin1ELin1ELin1ELin1ELin1ELin1ELin1EEEvN5torch10headeronly6detail27GenericPackedTensorAccessorINS7_14TensorAccessorINS3_8ArrayRefIlEEKT_Lm4ENS6_16DefaultPtrTraitsEiEENS_6detail16IndexBoundsCheckILm5EiEESD_Lm5ESE_iEENS8_INS9_ISB_SC_Lm4ESE_iEESI_SC_Lm5ESE_iEESJ_iiiiiiiii ; -- Begin function _ZN2at6native12_GLOBAL__N_143conv_depthwise3d_cuda_backward_input_kernelIN3c108BFloat16EfLin1ELin1ELin1ELin1ELin1ELin1ELin1ELin1ELin1EEEvN5torch10headeronly6detail27GenericPackedTensorAccessorINS7_14TensorAccessorINS3_8ArrayRefIlEEKT_Lm4ENS6_16DefaultPtrTraitsEiEENS_6detail16IndexBoundsCheckILm5EiEESD_Lm5ESE_iEENS8_INS9_ISB_SC_Lm4ESE_iEESI_SC_Lm5ESE_iEESJ_iiiiiiiii
	.p2align	8
	.type	_ZN2at6native12_GLOBAL__N_143conv_depthwise3d_cuda_backward_input_kernelIN3c108BFloat16EfLin1ELin1ELin1ELin1ELin1ELin1ELin1ELin1ELin1EEEvN5torch10headeronly6detail27GenericPackedTensorAccessorINS7_14TensorAccessorINS3_8ArrayRefIlEEKT_Lm4ENS6_16DefaultPtrTraitsEiEENS_6detail16IndexBoundsCheckILm5EiEESD_Lm5ESE_iEENS8_INS9_ISB_SC_Lm4ESE_iEESI_SC_Lm5ESE_iEESJ_iiiiiiiii,@function
_ZN2at6native12_GLOBAL__N_143conv_depthwise3d_cuda_backward_input_kernelIN3c108BFloat16EfLin1ELin1ELin1ELin1ELin1ELin1ELin1ELin1ELin1EEEvN5torch10headeronly6detail27GenericPackedTensorAccessorINS7_14TensorAccessorINS3_8ArrayRefIlEEKT_Lm4ENS6_16DefaultPtrTraitsEiEENS_6detail16IndexBoundsCheckILm5EiEESD_Lm5ESE_iEENS8_INS9_ISB_SC_Lm4ESE_iEESI_SC_Lm5ESE_iEESJ_iiiiiiiii: ; @_ZN2at6native12_GLOBAL__N_143conv_depthwise3d_cuda_backward_input_kernelIN3c108BFloat16EfLin1ELin1ELin1ELin1ELin1ELin1ELin1ELin1ELin1EEEvN5torch10headeronly6detail27GenericPackedTensorAccessorINS7_14TensorAccessorINS3_8ArrayRefIlEEKT_Lm4ENS6_16DefaultPtrTraitsEiEENS_6detail16IndexBoundsCheckILm5EiEESD_Lm5ESE_iEENS8_INS9_ISB_SC_Lm4ESE_iEESI_SC_Lm5ESE_iEESJ_iiiiiiiii
; %bb.0:
	s_clause 0x1
	s_load_b128 s[16:19], s[0:1], 0x38
	s_load_b32 s2, s[0:1], 0xc4
	s_bfe_u32 s3, ttmp6, 0x4000c
	s_load_b64 s[6:7], s[0:1], 0x48
	s_add_co_i32 s3, s3, 1
	s_and_b32 s4, ttmp6, 15
	s_mul_i32 s3, ttmp9, s3
	s_getreg_b32 s5, hwreg(HW_REG_IB_STS2, 6, 4)
	v_mov_b32_e32 v1, 0
	s_add_co_i32 s4, s4, s3
	s_mov_b32 s37, 0
	s_wait_kmcnt 0x0
	s_abs_i32 s33, s17
	s_and_b32 s2, s2, 0xffff
	s_cmp_eq_u32 s5, 0
	s_mul_i32 s34, s7, s16
	s_cselect_b32 s3, ttmp9, s4
	s_ashr_i32 s35, s34, 31
	v_mad_nc_u64_u32 v[2:3], s2, s3, v[0:1]
	s_cvt_f32_u32 s3, s33
	s_mov_b32 s4, exec_lo
	s_delay_alu instid0(SALU_CYCLE_2) | instskip(SKIP_1) | instid1(TRANS32_DEP_1)
	v_rcp_iflag_f32_e32 v0, s3
	v_nop
	v_readfirstlane_b32 s3, v0
	s_delay_alu instid0(VALU_DEP_3)
	v_cmpx_gt_i64_e64 s[34:35], v[2:3]
	s_cbranch_execz .LBB31_19
; %bb.1:
	s_clause 0x1
	s_load_b128 s[20:23], s[0:1], 0xc
	s_load_b64 s[38:39], s[0:1], 0x0
	s_mul_f32 s3, s3, 0x4f7ffffe
	s_sub_co_i32 s52, 0, s33
	s_mov_b32 s5, s37
	s_load_b128 s[24:27], s[0:1], 0x70
	s_cvt_u32_f32 s3, s3
	s_ashr_i32 s16, s17, 31
	s_add_nc_u64 s[28:29], s[0:1], 0xb8
	s_clause 0x1
	s_load_b64 s[40:41], s[0:1], 0x1c
	s_load_b64 s[42:43], s[0:1], 0x30
	s_mul_i32 s4, s52, s3
	s_load_b256 s[8:15], s[0:1], 0x90
	s_mul_hi_u32 s4, s3, s4
	s_mov_b32 s47, s37
	s_add_co_i32 s4, s3, s4
	s_mov_b32 s49, s37
	s_mov_b32 s51, s37
	;; [unrolled: 1-line block ×5, first 2 shown]
	s_wait_kmcnt 0x0
	s_abs_i32 s36, s20
	s_ashr_i32 s3, s20, 31
	s_mul_u64 s[4:5], s[36:37], s[4:5]
	s_xor_b32 s3, s3, s16
	s_mul_i32 s4, s5, s33
	s_add_co_i32 s30, s5, 1
	s_sub_co_i32 s4, s36, s4
	s_load_b32 s20, s[0:1], 0xb0
	s_sub_co_i32 s31, s4, s33
	s_cmp_ge_u32 s4, s33
	s_mov_b32 s59, s37
	s_cselect_b32 s5, s30, s5
	s_cselect_b32 s4, s31, s4
	s_add_co_i32 s30, s5, 1
	s_cmp_ge_u32 s4, s33
	s_mov_b32 s77, s37
	s_cselect_b32 s4, s30, s5
	s_load_b32 s5, s[28:29], 0x0
	s_xor_b32 s4, s4, s3
	s_load_b64 s[44:45], s[0:1], 0x60
	s_wait_xcnt 0x0
	s_load_b128 s[28:31], s[0:1], 0x50
	s_sub_co_i32 s60, s4, s3
	s_cmp_gt_i32 s24, 0
	s_wait_xcnt 0x0
	v_readfirstlane_b32 s0, v0
	s_cselect_b32 s61, -1, 0
	s_cmp_gt_i32 s25, 0
	s_cselect_b32 s62, -1, 0
	s_cmp_gt_i32 s26, 0
	s_mul_f32 s0, s0, 0x4f7ffffe
	s_cselect_b32 s63, -1, 0
	s_cmp_gt_i32 s60, 0
	s_cselect_b32 s64, -1, 0
	s_abs_i32 s66, s19
	s_abs_i32 s65, s6
	s_cvt_f32_u32 s3, s66
	s_cvt_f32_u32 s1, s65
	s_abs_i32 s67, s18
	s_wait_kmcnt 0x0
	s_mul_i32 s36, s5, s2
	v_rcp_iflag_f32_e32 v4, s3
	v_rcp_iflag_f32_e32 v0, s1
	s_cvt_f32_u32 s2, s67
	s_abs_i32 s70, s8
	s_sub_co_i32 s4, 0, s66
	s_cvt_f32_u32 s46, s70
	v_rcp_iflag_f32_e32 v5, s2
	v_readfirstlane_b32 s3, v4
	v_readfirstlane_b32 s2, v0
	v_rcp_iflag_f32_e32 v0, s46
	s_sub_co_i32 s1, 0, s65
	s_abs_i32 s72, s9
	s_mul_f32 s3, s3, 0x4f7ffffe
	v_readfirstlane_b32 s5, v5
	s_mul_f32 s2, s2, 0x4f7ffffe
	s_sub_co_i32 s50, 0, s67
	s_cvt_u32_f32 s3, s3
	s_cvt_u32_f32 s0, s0
	;; [unrolled: 1-line block ×3, first 2 shown]
	s_mul_f32 s5, s5, 0x4f7ffffe
	s_mul_i32 s4, s4, s3
	s_abs_i32 s73, s10
	s_mul_i32 s1, s1, s2
	s_mul_hi_u32 s4, s3, s4
	s_cvt_u32_f32 s5, s5
	s_mul_hi_u32 s1, s2, s1
	s_add_co_i32 s48, s3, s4
	s_cvt_f32_u32 s3, s72
	s_add_co_i32 s46, s2, s1
	v_readfirstlane_b32 s2, v0
	s_mul_i32 s50, s50, s5
	v_rcp_iflag_f32_e32 v0, s3
	s_mul_hi_u32 s1, s5, s50
	s_mul_i32 s52, s52, s0
	s_add_co_i32 s50, s5, s1
	s_mul_f32 s1, s2, 0x4f7ffffe
	s_cvt_f32_u32 s3, s73
	s_mul_hi_u32 s2, s0, s52
	s_ashr_i32 s68, s6, 31
	s_add_co_i32 s52, s0, s2
	s_cvt_u32_f32 s0, s1
	v_nop
	v_readfirstlane_b32 s1, v0
	v_rcp_iflag_f32_e32 v0, s3
	s_sub_co_i32 s2, 0, s70
	s_ashr_i32 s69, s19, 31
	s_mul_i32 s2, s2, s0
	s_mul_f32 s1, s1, 0x4f7ffffe
	s_mul_hi_u32 s2, s0, s2
	s_ashr_i32 s71, s18, 31
	v_nop
	v_readfirstlane_b32 s3, v0
	s_add_co_i32 s54, s0, s2
	s_cvt_u32_f32 s0, s1
	s_sub_co_i32 s1, 0, s72
	s_ashr_i32 s74, s8, 31
	s_mul_f32 s2, s3, 0x4f7ffffe
	s_mul_i32 s1, s1, s0
	s_ashr_i32 s75, s9, 31
	s_mul_hi_u32 s1, s0, s1
	s_cvt_u32_f32 s2, s2
	s_add_co_i32 s56, s0, s1
	s_sub_co_i32 s0, 0, s73
	s_ashr_i32 s76, s10, 31
	s_mul_i32 s0, s0, s2
	s_delay_alu instid0(SALU_CYCLE_1) | instskip(NEXT) | instid1(SALU_CYCLE_1)
	s_mul_hi_u32 s0, s2, s0
	s_add_co_i32 s58, s2, s0
	s_branch .LBB31_4
.LBB31_2:                               ;   in Loop: Header=BB31_4 Depth=1
	s_or_b32 exec_lo, exec_lo, s78
.LBB31_3:                               ;   in Loop: Header=BB31_4 Depth=1
	v_mul_lo_u32 v4, v14, s7
	v_mul_lo_u32 v6, s28, v15
	;; [unrolled: 1-line block ×5, first 2 shown]
	v_bfe_u32 v0, v12, 16, 1
	v_add_nc_u64_e32 v[2:3], s[36:37], v[2:3]
	v_cmp_o_f32_e64 s0, v12, v12
	s_delay_alu instid0(VALU_DEP_3) | instskip(SKIP_2) | instid1(VALU_DEP_3)
	v_add3_u32 v0, v12, v0, 0x7fff
	v_dual_ashrrev_i32 v5, 31, v4 :: v_dual_ashrrev_i32 v7, 31, v6
	v_dual_ashrrev_i32 v9, 31, v8 :: v_dual_ashrrev_i32 v15, 31, v14
	v_dual_lshrrev_b32 v0, 16, v0 :: v_dual_ashrrev_i32 v11, 31, v10
	s_delay_alu instid0(VALU_DEP_3) | instskip(SKIP_1) | instid1(VALU_DEP_3)
	v_lshl_add_u64 v[4:5], v[4:5], 1, s[42:43]
	v_cmp_le_i64_e32 vcc_lo, s[34:35], v[2:3]
	v_cndmask_b32_e64 v0, 0x7fc0, v0, s0
	s_delay_alu instid0(VALU_DEP_3) | instskip(SKIP_1) | instid1(VALU_DEP_1)
	v_lshl_add_u64 v[4:5], v[6:7], 1, v[4:5]
	s_or_b32 s77, vcc_lo, s77
	v_lshl_add_u64 v[4:5], v[8:9], 1, v[4:5]
	s_delay_alu instid0(VALU_DEP_1) | instskip(NEXT) | instid1(VALU_DEP_1)
	v_lshl_add_u64 v[4:5], v[14:15], 1, v[4:5]
	v_lshl_add_u64 v[4:5], v[10:11], 1, v[4:5]
	global_store_b16 v[4:5], v0, off
	s_wait_xcnt 0x0
	s_and_not1_b32 exec_lo, exec_lo, s77
	s_cbranch_execz .LBB31_19
.LBB31_4:                               ; =>This Loop Header: Depth=1
                                        ;     Child Loop BB31_7 Depth 2
                                        ;       Child Loop BB31_10 Depth 3
                                        ;         Child Loop BB31_13 Depth 4
                                        ;           Child Loop BB31_16 Depth 5
	v_sub_nc_u32_e32 v0, 0, v2
	s_delay_alu instid0(VALU_DEP_1) | instskip(NEXT) | instid1(VALU_DEP_1)
	v_max_i32_e32 v0, v2, v0
	v_mul_u64_e32 v[4:5], s[46:47], v[0:1]
	s_delay_alu instid0(VALU_DEP_1) | instskip(NEXT) | instid1(VALU_DEP_1)
	v_mul_lo_u32 v4, v5, s65
	v_dual_sub_nc_u32 v0, v0, v4 :: v_dual_add_nc_u32 v4, 1, v5
	s_delay_alu instid0(VALU_DEP_1) | instskip(NEXT) | instid1(VALU_DEP_2)
	v_cmp_le_u32_e32 vcc_lo, s65, v0
	v_cndmask_b32_e32 v4, v5, v4, vcc_lo
	v_subrev_nc_u32_e32 v6, s65, v0
	v_ashrrev_i32_e32 v5, 31, v2
	s_delay_alu instid0(VALU_DEP_2) | instskip(NEXT) | instid1(VALU_DEP_1)
	v_dual_cndmask_b32 v0, v0, v6, vcc_lo :: v_dual_add_nc_u32 v6, 1, v4
	v_cmp_le_u32_e32 vcc_lo, s65, v0
	s_delay_alu instid0(VALU_DEP_2) | instskip(NEXT) | instid1(VALU_DEP_1)
	v_dual_cndmask_b32 v0, v4, v6, vcc_lo :: v_dual_bitop2_b32 v5, s68, v5 bitop3:0x14
	v_xor_b32_e32 v0, v0, v5
	s_delay_alu instid0(VALU_DEP_1) | instskip(NEXT) | instid1(VALU_DEP_1)
	v_sub_nc_u32_e32 v6, v0, v5
	v_sub_nc_u32_e32 v0, 0, v6
	s_delay_alu instid0(VALU_DEP_1) | instskip(NEXT) | instid1(VALU_DEP_1)
	v_max_i32_e32 v0, v6, v0
	v_mul_u64_e32 v[4:5], s[48:49], v[0:1]
	s_delay_alu instid0(VALU_DEP_1) | instskip(NEXT) | instid1(VALU_DEP_1)
	v_mul_lo_u32 v4, v5, s66
	v_dual_sub_nc_u32 v0, v0, v4 :: v_dual_add_nc_u32 v4, 1, v5
	s_delay_alu instid0(VALU_DEP_1) | instskip(SKIP_1) | instid1(VALU_DEP_2)
	v_subrev_nc_u32_e32 v7, s66, v0
	v_cmp_le_u32_e32 vcc_lo, s66, v0
	v_dual_cndmask_b32 v4, v5, v4, vcc_lo :: v_dual_cndmask_b32 v0, v0, v7, vcc_lo
	s_delay_alu instid0(VALU_DEP_1) | instskip(NEXT) | instid1(VALU_DEP_2)
	v_dual_ashrrev_i32 v5, 31, v6 :: v_dual_add_nc_u32 v7, 1, v4
	v_cmp_le_u32_e32 vcc_lo, s66, v0
	s_delay_alu instid0(VALU_DEP_2) | instskip(NEXT) | instid1(VALU_DEP_1)
	v_dual_cndmask_b32 v0, v4, v7, vcc_lo :: v_dual_bitop2_b32 v5, s69, v5 bitop3:0x14
	v_xor_b32_e32 v0, v0, v5
	s_delay_alu instid0(VALU_DEP_1) | instskip(NEXT) | instid1(VALU_DEP_1)
	v_sub_nc_u32_e32 v7, v0, v5
	v_sub_nc_u32_e32 v0, 0, v7
	s_delay_alu instid0(VALU_DEP_1) | instskip(NEXT) | instid1(VALU_DEP_1)
	v_max_i32_e32 v0, v7, v0
	v_mul_u64_e32 v[4:5], s[50:51], v[0:1]
	s_delay_alu instid0(VALU_DEP_1) | instskip(NEXT) | instid1(VALU_DEP_1)
	v_mul_lo_u32 v4, v5, s67
	v_dual_sub_nc_u32 v0, v0, v4 :: v_dual_add_nc_u32 v4, 1, v5
	s_delay_alu instid0(VALU_DEP_1) | instskip(SKIP_1) | instid1(VALU_DEP_3)
	v_subrev_nc_u32_e32 v8, s67, v0
	v_cmp_le_u32_e32 vcc_lo, s67, v0
	v_dual_cndmask_b32 v4, v5, v4 :: v_dual_ashrrev_i32 v5, 31, v7
	s_delay_alu instid0(VALU_DEP_1) | instskip(NEXT) | instid1(VALU_DEP_2)
	v_dual_cndmask_b32 v0, v0, v8, vcc_lo :: v_dual_bitop2_b32 v5, s71, v5 bitop3:0x14
	v_add_nc_u32_e32 v8, 1, v4
	s_delay_alu instid0(VALU_DEP_2) | instskip(NEXT) | instid1(VALU_DEP_2)
	v_cmp_le_u32_e32 vcc_lo, s67, v0
	v_cndmask_b32_e32 v0, v4, v8, vcc_lo
	s_delay_alu instid0(VALU_DEP_1) | instskip(NEXT) | instid1(VALU_DEP_1)
	v_xor_b32_e32 v0, v0, v5
	v_sub_nc_u32_e32 v8, v0, v5
	s_delay_alu instid0(VALU_DEP_1) | instskip(NEXT) | instid1(VALU_DEP_1)
	v_sub_nc_u32_e32 v0, 0, v8
	v_max_i32_e32 v0, v8, v0
	s_delay_alu instid0(VALU_DEP_1) | instskip(NEXT) | instid1(VALU_DEP_1)
	v_mul_u64_e32 v[4:5], s[52:53], v[0:1]
	v_mul_lo_u32 v4, v5, s33
	s_delay_alu instid0(VALU_DEP_1) | instskip(NEXT) | instid1(VALU_DEP_1)
	v_dual_sub_nc_u32 v0, v0, v4 :: v_dual_add_nc_u32 v4, 1, v5
	v_subrev_nc_u32_e32 v9, s33, v0
	v_cmp_le_u32_e32 vcc_lo, s33, v0
	s_delay_alu instid0(VALU_DEP_2) | instskip(SKIP_1) | instid1(VALU_DEP_2)
	v_dual_cndmask_b32 v4, v5, v4, vcc_lo :: v_dual_cndmask_b32 v0, v0, v9, vcc_lo
	v_ashrrev_i32_e32 v5, 31, v8
	v_add_nc_u32_e32 v9, 1, v4
	s_delay_alu instid0(VALU_DEP_3) | instskip(NEXT) | instid1(VALU_DEP_3)
	v_cmp_le_u32_e32 vcc_lo, s33, v0
	v_xor_b32_e32 v5, s16, v5
	s_delay_alu instid0(VALU_DEP_3) | instskip(SKIP_2) | instid1(VALU_DEP_1)
	v_cndmask_b32_e32 v0, v4, v9, vcc_lo
	v_mul_lo_u32 v4, v7, s19
	s_and_not1_b32 vcc_lo, exec_lo, s64
	v_dual_sub_nc_u32 v11, v6, v4 :: v_dual_bitop2_b32 v0, v0, v5 bitop3:0x14
	s_delay_alu instid0(VALU_DEP_1) | instskip(SKIP_2) | instid1(VALU_DEP_2)
	v_sub_nc_u32_e32 v14, v0, v5
	v_mul_lo_u32 v0, v6, s6
	v_mul_lo_u32 v5, v8, s18
	v_sub_nc_u32_e32 v10, v2, v0
	s_delay_alu instid0(VALU_DEP_4) | instskip(NEXT) | instid1(VALU_DEP_3)
	v_mul_lo_u32 v9, v14, s17
	v_sub_nc_u32_e32 v13, v7, v5
	s_delay_alu instid0(VALU_DEP_2)
	v_sub_nc_u32_e32 v15, v8, v9
	s_cbranch_vccnz .LBB31_18
; %bb.5:                                ;   in Loop: Header=BB31_4 Depth=1
	s_delay_alu instid0(VALU_DEP_1)
	v_mul_lo_u32 v16, v15, s60
	v_mul_lo_u32 v4, s40, v14
	v_dual_add_nc_u32 v17, s13, v10 :: v_dual_add_nc_u32 v19, s11, v13
	v_mov_b32_e32 v12, 0
	s_mov_b32 s78, 0
	v_add_nc_u32_e32 v18, s12, v11
	v_mul_lo_u32 v6, s27, v16
	v_ashrrev_i32_e32 v5, 31, v4
	v_add_nc_u32_e32 v20, s60, v16
	s_delay_alu instid0(VALU_DEP_2) | instskip(NEXT) | instid1(VALU_DEP_4)
	v_lshl_add_u64 v[4:5], v[4:5], 1, s[38:39]
	v_ashrrev_i32_e32 v7, 31, v6
	s_delay_alu instid0(VALU_DEP_1)
	v_lshl_add_u64 v[6:7], v[6:7], 1, s[44:45]
	s_branch .LBB31_7
.LBB31_6:                               ;   in Loop: Header=BB31_7 Depth=2
	v_add_nc_u32_e32 v16, 1, v16
	s_delay_alu instid0(VALU_DEP_1) | instskip(SKIP_1) | instid1(SALU_CYCLE_1)
	v_cmp_ge_i32_e32 vcc_lo, v16, v20
	s_or_b32 s78, vcc_lo, s78
	s_and_not1_b32 exec_lo, exec_lo, s78
	s_cbranch_execz .LBB31_2
.LBB31_7:                               ;   Parent Loop BB31_4 Depth=1
                                        ; =>  This Loop Header: Depth=2
                                        ;       Child Loop BB31_10 Depth 3
                                        ;         Child Loop BB31_13 Depth 4
                                        ;           Child Loop BB31_16 Depth 5
	s_and_not1_b32 vcc_lo, exec_lo, s61
	s_cbranch_vccnz .LBB31_6
; %bb.8:                                ;   in Loop: Header=BB31_7 Depth=2
	v_mul_lo_u32 v8, s41, v16
	s_mov_b32 s79, 0
	s_delay_alu instid0(VALU_DEP_1) | instskip(NEXT) | instid1(VALU_DEP_1)
	v_ashrrev_i32_e32 v9, 31, v8
	v_lshl_add_u64 v[8:9], v[8:9], 1, v[4:5]
	s_branch .LBB31_10
.LBB31_9:                               ;   in Loop: Header=BB31_10 Depth=3
	s_add_co_i32 s79, s79, 1
	s_delay_alu instid0(SALU_CYCLE_1)
	s_cmp_eq_u32 s79, s24
	s_cbranch_scc1 .LBB31_6
.LBB31_10:                              ;   Parent Loop BB31_4 Depth=1
                                        ;     Parent Loop BB31_7 Depth=2
                                        ; =>    This Loop Header: Depth=3
                                        ;         Child Loop BB31_13 Depth 4
                                        ;           Child Loop BB31_16 Depth 5
	s_and_not1_b32 vcc_lo, exec_lo, s62
	s_cbranch_vccnz .LBB31_9
; %bb.11:                               ;   in Loop: Header=BB31_10 Depth=3
	s_mul_i32 s0, s14, s79
	s_mov_b32 s80, 0
	v_subrev_nc_u32_e32 v24, s0, v19
	s_delay_alu instid0(VALU_DEP_1) | instskip(NEXT) | instid1(VALU_DEP_1)
	v_sub_nc_u32_e32 v0, 0, v24
	v_max_i32_e32 v0, v24, v0
	s_delay_alu instid0(VALU_DEP_1) | instskip(NEXT) | instid1(VALU_DEP_1)
	v_mul_u64_e32 v[22:23], s[54:55], v[0:1]
	v_mul_lo_u32 v21, v23, s70
	s_delay_alu instid0(VALU_DEP_1) | instskip(NEXT) | instid1(VALU_DEP_1)
	v_dual_sub_nc_u32 v0, v0, v21 :: v_dual_add_nc_u32 v21, 1, v23
	v_cmp_le_u32_e32 vcc_lo, s70, v0
	s_delay_alu instid0(VALU_DEP_2) | instskip(SKIP_1) | instid1(VALU_DEP_1)
	v_dual_cndmask_b32 v21, v23, v21, vcc_lo :: v_dual_ashrrev_i32 v23, 31, v24
	v_subrev_nc_u32_e32 v22, s70, v0
	v_dual_cndmask_b32 v0, v0, v22, vcc_lo :: v_dual_add_nc_u32 v22, 1, v21
	s_delay_alu instid0(VALU_DEP_1) | instskip(NEXT) | instid1(VALU_DEP_2)
	v_cmp_le_u32_e32 vcc_lo, s70, v0
	v_dual_cndmask_b32 v0, v21, v22, vcc_lo :: v_dual_bitop2_b32 v23, s74, v23 bitop3:0x14
	s_delay_alu instid0(VALU_DEP_1) | instskip(NEXT) | instid1(VALU_DEP_1)
	v_xor_b32_e32 v0, v0, v23
	v_sub_nc_u32_e32 v0, v0, v23
	s_delay_alu instid0(VALU_DEP_1) | instskip(SKIP_3) | instid1(VALU_DEP_4)
	v_mul_lo_u32 v22, v0, s8
	v_mul_lo_u32 v21, v0, s22
	v_cmp_lt_i32_e64 s0, -1, v0
	v_cmp_gt_i32_e64 s1, s21, v0
	v_cmp_eq_u32_e64 s2, v22, v24
	s_branch .LBB31_13
.LBB31_12:                              ;   in Loop: Header=BB31_13 Depth=4
	s_add_co_i32 s80, s80, 1
	s_delay_alu instid0(SALU_CYCLE_1)
	s_cmp_eq_u32 s80, s25
	s_cbranch_scc1 .LBB31_9
.LBB31_13:                              ;   Parent Loop BB31_4 Depth=1
                                        ;     Parent Loop BB31_7 Depth=2
                                        ;       Parent Loop BB31_10 Depth=3
                                        ; =>      This Loop Header: Depth=4
                                        ;           Child Loop BB31_16 Depth 5
	s_and_not1_b32 vcc_lo, exec_lo, s63
	s_cbranch_vccnz .LBB31_12
; %bb.14:                               ;   in Loop: Header=BB31_13 Depth=4
	s_mul_i32 s3, s15, s80
	s_mov_b32 s82, s26
	v_subrev_nc_u32_e32 v24, s3, v18
	s_delay_alu instid0(VALU_DEP_1) | instskip(NEXT) | instid1(VALU_DEP_1)
	v_sub_nc_u32_e32 v0, 0, v24
	v_max_i32_e32 v0, v24, v0
	s_delay_alu instid0(VALU_DEP_1) | instskip(NEXT) | instid1(VALU_DEP_1)
	v_mul_u64_e32 v[22:23], s[56:57], v[0:1]
	v_mul_lo_u32 v22, v23, s72
	s_delay_alu instid0(VALU_DEP_1) | instskip(NEXT) | instid1(VALU_DEP_1)
	v_dual_sub_nc_u32 v0, v0, v22 :: v_dual_add_nc_u32 v22, 1, v23
	v_cmp_le_u32_e32 vcc_lo, s72, v0
	s_delay_alu instid0(VALU_DEP_2) | instskip(SKIP_1) | instid1(VALU_DEP_1)
	v_dual_cndmask_b32 v22, v23, v22 :: v_dual_ashrrev_i32 v23, 31, v24
	v_subrev_nc_u32_e32 v25, s72, v0
	v_dual_cndmask_b32 v0, v0, v25 :: v_dual_add_nc_u32 v25, 1, v22
	s_delay_alu instid0(VALU_DEP_1) | instskip(NEXT) | instid1(VALU_DEP_2)
	v_cmp_le_u32_e32 vcc_lo, s72, v0
	v_dual_cndmask_b32 v0, v22, v25, vcc_lo :: v_dual_bitop2_b32 v23, s75, v23 bitop3:0x14
	s_delay_alu instid0(VALU_DEP_1) | instskip(NEXT) | instid1(VALU_DEP_1)
	v_xor_b32_e32 v0, v0, v23
	v_sub_nc_u32_e32 v0, v0, v23
	s_delay_alu instid0(VALU_DEP_1) | instskip(SKIP_3) | instid1(VALU_DEP_3)
	v_mul_lo_u32 v23, v0, s9
	v_add_nc_u32_e32 v22, v0, v21
	v_cmp_gt_i32_e64 s3, s22, v0
	v_cmp_lt_i32_e32 vcc_lo, -1, v0
	v_mul_lo_u32 v22, v22, s23
	v_cmp_eq_u32_e64 s4, v23, v24
	v_mov_b32_e32 v23, v17
	s_and_b32 s81, s2, s4
	s_branch .LBB31_16
.LBB31_15:                              ;   in Loop: Header=BB31_16 Depth=5
	s_wait_xcnt 0x0
	s_or_b32 exec_lo, exec_lo, s4
	v_mul_lo_u32 v0, v0, s10
	s_wait_loadcnt 0x0
	v_lshlrev_b32_e32 v24, 16, v24
	v_add_nc_u64_e32 v[6:7], 2, v[6:7]
	s_add_co_i32 s82, s82, -1
	s_delay_alu instid0(VALU_DEP_3) | instskip(NEXT) | instid1(VALU_DEP_3)
	v_cmp_eq_u32_e64 s4, v23, v0
	v_fma_f32 v0, v25, v24, v12
	v_subrev_nc_u32_e32 v23, s20, v23
	s_and_b32 s4, s81, s4
	s_cmp_eq_u32 s82, 0
	s_delay_alu instid0(VALU_DEP_2)
	v_cndmask_b32_e64 v12, v12, v0, s4
	s_cbranch_scc1 .LBB31_12
.LBB31_16:                              ;   Parent Loop BB31_4 Depth=1
                                        ;     Parent Loop BB31_7 Depth=2
                                        ;       Parent Loop BB31_10 Depth=3
                                        ;         Parent Loop BB31_13 Depth=4
                                        ; =>        This Inner Loop Header: Depth=5
	global_load_u16 v24, v[6:7], off
	v_sub_nc_u32_e32 v0, 0, v23
	s_delay_alu instid0(VALU_DEP_1) | instskip(NEXT) | instid1(VALU_DEP_1)
	v_max_i32_e32 v0, v23, v0
	v_mul_u64_e32 v[26:27], s[58:59], v[0:1]
	s_delay_alu instid0(VALU_DEP_1) | instskip(NEXT) | instid1(VALU_DEP_1)
	v_mul_lo_u32 v25, v27, s73
	v_dual_sub_nc_u32 v0, v0, v25 :: v_dual_add_nc_u32 v25, 1, v27
	s_delay_alu instid0(VALU_DEP_1) | instskip(NEXT) | instid1(VALU_DEP_1)
	v_cmp_le_u32_e64 s4, s73, v0
	v_dual_cndmask_b32 v25, v27, v25, s4 :: v_dual_ashrrev_i32 v27, 31, v23
	v_subrev_nc_u32_e32 v26, s73, v0
	s_delay_alu instid0(VALU_DEP_1) | instskip(NEXT) | instid1(VALU_DEP_1)
	v_dual_cndmask_b32 v0, v0, v26, s4 :: v_dual_add_nc_u32 v26, 1, v25
	v_cmp_le_u32_e64 s4, s73, v0
	s_delay_alu instid0(VALU_DEP_1) | instskip(NEXT) | instid1(VALU_DEP_1)
	v_dual_cndmask_b32 v0, v25, v26, s4 :: v_dual_bitop2_b32 v27, s76, v27 bitop3:0x14
	v_dual_mov_b32 v25, 0 :: v_dual_bitop2_b32 v0, v0, v27 bitop3:0x14
	s_delay_alu instid0(VALU_DEP_1) | instskip(NEXT) | instid1(VALU_DEP_1)
	v_sub_nc_u32_e32 v0, v0, v27
	v_cmp_lt_i32_e64 s4, -1, v0
	v_cmp_gt_i32_e64 s5, s23, v0
	s_and_b32 s4, s4, vcc_lo
	s_delay_alu instid0(SALU_CYCLE_1) | instskip(NEXT) | instid1(SALU_CYCLE_1)
	s_and_b32 s4, s4, s0
	s_and_b32 s4, s5, s4
	s_delay_alu instid0(SALU_CYCLE_1) | instskip(NEXT) | instid1(SALU_CYCLE_1)
	s_and_b32 s4, s4, s3
	s_and_b32 s5, s4, s1
	s_wait_xcnt 0x0
	s_and_saveexec_b32 s4, s5
	s_cbranch_execz .LBB31_15
; %bb.17:                               ;   in Loop: Header=BB31_16 Depth=5
	v_add_nc_u32_e32 v26, v0, v22
	s_delay_alu instid0(VALU_DEP_1) | instskip(NEXT) | instid1(VALU_DEP_1)
	v_ashrrev_i32_e32 v27, 31, v26
	v_lshl_add_u64 v[26:27], v[26:27], 1, v[8:9]
	global_load_u16 v25, v[26:27], off
	s_wait_loadcnt 0x0
	v_lshlrev_b32_e32 v25, 16, v25
	s_branch .LBB31_15
.LBB31_18:                              ;   in Loop: Header=BB31_4 Depth=1
	v_mov_b32_e32 v12, 0
	s_branch .LBB31_3
.LBB31_19:
	s_endpgm
	.section	.rodata,"a",@progbits
	.p2align	6, 0x0
	.amdhsa_kernel _ZN2at6native12_GLOBAL__N_143conv_depthwise3d_cuda_backward_input_kernelIN3c108BFloat16EfLin1ELin1ELin1ELin1ELin1ELin1ELin1ELin1ELin1EEEvN5torch10headeronly6detail27GenericPackedTensorAccessorINS7_14TensorAccessorINS3_8ArrayRefIlEEKT_Lm4ENS6_16DefaultPtrTraitsEiEENS_6detail16IndexBoundsCheckILm5EiEESD_Lm5ESE_iEENS8_INS9_ISB_SC_Lm4ESE_iEESI_SC_Lm5ESE_iEESJ_iiiiiiiii
		.amdhsa_group_segment_fixed_size 0
		.amdhsa_private_segment_fixed_size 0
		.amdhsa_kernarg_size 440
		.amdhsa_user_sgpr_count 2
		.amdhsa_user_sgpr_dispatch_ptr 0
		.amdhsa_user_sgpr_queue_ptr 0
		.amdhsa_user_sgpr_kernarg_segment_ptr 1
		.amdhsa_user_sgpr_dispatch_id 0
		.amdhsa_user_sgpr_kernarg_preload_length 0
		.amdhsa_user_sgpr_kernarg_preload_offset 0
		.amdhsa_user_sgpr_private_segment_size 0
		.amdhsa_wavefront_size32 1
		.amdhsa_uses_dynamic_stack 0
		.amdhsa_enable_private_segment 0
		.amdhsa_system_sgpr_workgroup_id_x 1
		.amdhsa_system_sgpr_workgroup_id_y 0
		.amdhsa_system_sgpr_workgroup_id_z 0
		.amdhsa_system_sgpr_workgroup_info 0
		.amdhsa_system_vgpr_workitem_id 0
		.amdhsa_next_free_vgpr 28
		.amdhsa_next_free_sgpr 83
		.amdhsa_named_barrier_count 0
		.amdhsa_reserve_vcc 1
		.amdhsa_float_round_mode_32 0
		.amdhsa_float_round_mode_16_64 0
		.amdhsa_float_denorm_mode_32 3
		.amdhsa_float_denorm_mode_16_64 3
		.amdhsa_fp16_overflow 0
		.amdhsa_memory_ordered 1
		.amdhsa_forward_progress 1
		.amdhsa_inst_pref_size 19
		.amdhsa_round_robin_scheduling 0
		.amdhsa_exception_fp_ieee_invalid_op 0
		.amdhsa_exception_fp_denorm_src 0
		.amdhsa_exception_fp_ieee_div_zero 0
		.amdhsa_exception_fp_ieee_overflow 0
		.amdhsa_exception_fp_ieee_underflow 0
		.amdhsa_exception_fp_ieee_inexact 0
		.amdhsa_exception_int_div_zero 0
	.end_amdhsa_kernel
	.section	.text._ZN2at6native12_GLOBAL__N_143conv_depthwise3d_cuda_backward_input_kernelIN3c108BFloat16EfLin1ELin1ELin1ELin1ELin1ELin1ELin1ELin1ELin1EEEvN5torch10headeronly6detail27GenericPackedTensorAccessorINS7_14TensorAccessorINS3_8ArrayRefIlEEKT_Lm4ENS6_16DefaultPtrTraitsEiEENS_6detail16IndexBoundsCheckILm5EiEESD_Lm5ESE_iEENS8_INS9_ISB_SC_Lm4ESE_iEESI_SC_Lm5ESE_iEESJ_iiiiiiiii,"axG",@progbits,_ZN2at6native12_GLOBAL__N_143conv_depthwise3d_cuda_backward_input_kernelIN3c108BFloat16EfLin1ELin1ELin1ELin1ELin1ELin1ELin1ELin1ELin1EEEvN5torch10headeronly6detail27GenericPackedTensorAccessorINS7_14TensorAccessorINS3_8ArrayRefIlEEKT_Lm4ENS6_16DefaultPtrTraitsEiEENS_6detail16IndexBoundsCheckILm5EiEESD_Lm5ESE_iEENS8_INS9_ISB_SC_Lm4ESE_iEESI_SC_Lm5ESE_iEESJ_iiiiiiiii,comdat
.Lfunc_end31:
	.size	_ZN2at6native12_GLOBAL__N_143conv_depthwise3d_cuda_backward_input_kernelIN3c108BFloat16EfLin1ELin1ELin1ELin1ELin1ELin1ELin1ELin1ELin1EEEvN5torch10headeronly6detail27GenericPackedTensorAccessorINS7_14TensorAccessorINS3_8ArrayRefIlEEKT_Lm4ENS6_16DefaultPtrTraitsEiEENS_6detail16IndexBoundsCheckILm5EiEESD_Lm5ESE_iEENS8_INS9_ISB_SC_Lm4ESE_iEESI_SC_Lm5ESE_iEESJ_iiiiiiiii, .Lfunc_end31-_ZN2at6native12_GLOBAL__N_143conv_depthwise3d_cuda_backward_input_kernelIN3c108BFloat16EfLin1ELin1ELin1ELin1ELin1ELin1ELin1ELin1ELin1EEEvN5torch10headeronly6detail27GenericPackedTensorAccessorINS7_14TensorAccessorINS3_8ArrayRefIlEEKT_Lm4ENS6_16DefaultPtrTraitsEiEENS_6detail16IndexBoundsCheckILm5EiEESD_Lm5ESE_iEENS8_INS9_ISB_SC_Lm4ESE_iEESI_SC_Lm5ESE_iEESJ_iiiiiiiii
                                        ; -- End function
	.set _ZN2at6native12_GLOBAL__N_143conv_depthwise3d_cuda_backward_input_kernelIN3c108BFloat16EfLin1ELin1ELin1ELin1ELin1ELin1ELin1ELin1ELin1EEEvN5torch10headeronly6detail27GenericPackedTensorAccessorINS7_14TensorAccessorINS3_8ArrayRefIlEEKT_Lm4ENS6_16DefaultPtrTraitsEiEENS_6detail16IndexBoundsCheckILm5EiEESD_Lm5ESE_iEENS8_INS9_ISB_SC_Lm4ESE_iEESI_SC_Lm5ESE_iEESJ_iiiiiiiii.num_vgpr, 28
	.set _ZN2at6native12_GLOBAL__N_143conv_depthwise3d_cuda_backward_input_kernelIN3c108BFloat16EfLin1ELin1ELin1ELin1ELin1ELin1ELin1ELin1ELin1EEEvN5torch10headeronly6detail27GenericPackedTensorAccessorINS7_14TensorAccessorINS3_8ArrayRefIlEEKT_Lm4ENS6_16DefaultPtrTraitsEiEENS_6detail16IndexBoundsCheckILm5EiEESD_Lm5ESE_iEENS8_INS9_ISB_SC_Lm4ESE_iEESI_SC_Lm5ESE_iEESJ_iiiiiiiii.num_agpr, 0
	.set _ZN2at6native12_GLOBAL__N_143conv_depthwise3d_cuda_backward_input_kernelIN3c108BFloat16EfLin1ELin1ELin1ELin1ELin1ELin1ELin1ELin1ELin1EEEvN5torch10headeronly6detail27GenericPackedTensorAccessorINS7_14TensorAccessorINS3_8ArrayRefIlEEKT_Lm4ENS6_16DefaultPtrTraitsEiEENS_6detail16IndexBoundsCheckILm5EiEESD_Lm5ESE_iEENS8_INS9_ISB_SC_Lm4ESE_iEESI_SC_Lm5ESE_iEESJ_iiiiiiiii.numbered_sgpr, 83
	.set _ZN2at6native12_GLOBAL__N_143conv_depthwise3d_cuda_backward_input_kernelIN3c108BFloat16EfLin1ELin1ELin1ELin1ELin1ELin1ELin1ELin1ELin1EEEvN5torch10headeronly6detail27GenericPackedTensorAccessorINS7_14TensorAccessorINS3_8ArrayRefIlEEKT_Lm4ENS6_16DefaultPtrTraitsEiEENS_6detail16IndexBoundsCheckILm5EiEESD_Lm5ESE_iEENS8_INS9_ISB_SC_Lm4ESE_iEESI_SC_Lm5ESE_iEESJ_iiiiiiiii.num_named_barrier, 0
	.set _ZN2at6native12_GLOBAL__N_143conv_depthwise3d_cuda_backward_input_kernelIN3c108BFloat16EfLin1ELin1ELin1ELin1ELin1ELin1ELin1ELin1ELin1EEEvN5torch10headeronly6detail27GenericPackedTensorAccessorINS7_14TensorAccessorINS3_8ArrayRefIlEEKT_Lm4ENS6_16DefaultPtrTraitsEiEENS_6detail16IndexBoundsCheckILm5EiEESD_Lm5ESE_iEENS8_INS9_ISB_SC_Lm4ESE_iEESI_SC_Lm5ESE_iEESJ_iiiiiiiii.private_seg_size, 0
	.set _ZN2at6native12_GLOBAL__N_143conv_depthwise3d_cuda_backward_input_kernelIN3c108BFloat16EfLin1ELin1ELin1ELin1ELin1ELin1ELin1ELin1ELin1EEEvN5torch10headeronly6detail27GenericPackedTensorAccessorINS7_14TensorAccessorINS3_8ArrayRefIlEEKT_Lm4ENS6_16DefaultPtrTraitsEiEENS_6detail16IndexBoundsCheckILm5EiEESD_Lm5ESE_iEENS8_INS9_ISB_SC_Lm4ESE_iEESI_SC_Lm5ESE_iEESJ_iiiiiiiii.uses_vcc, 1
	.set _ZN2at6native12_GLOBAL__N_143conv_depthwise3d_cuda_backward_input_kernelIN3c108BFloat16EfLin1ELin1ELin1ELin1ELin1ELin1ELin1ELin1ELin1EEEvN5torch10headeronly6detail27GenericPackedTensorAccessorINS7_14TensorAccessorINS3_8ArrayRefIlEEKT_Lm4ENS6_16DefaultPtrTraitsEiEENS_6detail16IndexBoundsCheckILm5EiEESD_Lm5ESE_iEENS8_INS9_ISB_SC_Lm4ESE_iEESI_SC_Lm5ESE_iEESJ_iiiiiiiii.uses_flat_scratch, 0
	.set _ZN2at6native12_GLOBAL__N_143conv_depthwise3d_cuda_backward_input_kernelIN3c108BFloat16EfLin1ELin1ELin1ELin1ELin1ELin1ELin1ELin1ELin1EEEvN5torch10headeronly6detail27GenericPackedTensorAccessorINS7_14TensorAccessorINS3_8ArrayRefIlEEKT_Lm4ENS6_16DefaultPtrTraitsEiEENS_6detail16IndexBoundsCheckILm5EiEESD_Lm5ESE_iEENS8_INS9_ISB_SC_Lm4ESE_iEESI_SC_Lm5ESE_iEESJ_iiiiiiiii.has_dyn_sized_stack, 0
	.set _ZN2at6native12_GLOBAL__N_143conv_depthwise3d_cuda_backward_input_kernelIN3c108BFloat16EfLin1ELin1ELin1ELin1ELin1ELin1ELin1ELin1ELin1EEEvN5torch10headeronly6detail27GenericPackedTensorAccessorINS7_14TensorAccessorINS3_8ArrayRefIlEEKT_Lm4ENS6_16DefaultPtrTraitsEiEENS_6detail16IndexBoundsCheckILm5EiEESD_Lm5ESE_iEENS8_INS9_ISB_SC_Lm4ESE_iEESI_SC_Lm5ESE_iEESJ_iiiiiiiii.has_recursion, 0
	.set _ZN2at6native12_GLOBAL__N_143conv_depthwise3d_cuda_backward_input_kernelIN3c108BFloat16EfLin1ELin1ELin1ELin1ELin1ELin1ELin1ELin1ELin1EEEvN5torch10headeronly6detail27GenericPackedTensorAccessorINS7_14TensorAccessorINS3_8ArrayRefIlEEKT_Lm4ENS6_16DefaultPtrTraitsEiEENS_6detail16IndexBoundsCheckILm5EiEESD_Lm5ESE_iEENS8_INS9_ISB_SC_Lm4ESE_iEESI_SC_Lm5ESE_iEESJ_iiiiiiiii.has_indirect_call, 0
	.section	.AMDGPU.csdata,"",@progbits
; Kernel info:
; codeLenInByte = 2348
; TotalNumSgprs: 85
; NumVgprs: 28
; ScratchSize: 0
; MemoryBound: 0
; FloatMode: 240
; IeeeMode: 1
; LDSByteSize: 0 bytes/workgroup (compile time only)
; SGPRBlocks: 0
; VGPRBlocks: 1
; NumSGPRsForWavesPerEU: 85
; NumVGPRsForWavesPerEU: 28
; NamedBarCnt: 0
; Occupancy: 16
; WaveLimiterHint : 0
; COMPUTE_PGM_RSRC2:SCRATCH_EN: 0
; COMPUTE_PGM_RSRC2:USER_SGPR: 2
; COMPUTE_PGM_RSRC2:TRAP_HANDLER: 0
; COMPUTE_PGM_RSRC2:TGID_X_EN: 1
; COMPUTE_PGM_RSRC2:TGID_Y_EN: 0
; COMPUTE_PGM_RSRC2:TGID_Z_EN: 0
; COMPUTE_PGM_RSRC2:TIDIG_COMP_CNT: 0
	.section	.text._ZN2at6native12_GLOBAL__N_144conv_depthwise3d_cuda_backward_weight_kernelIddLi1ELi1EEEvN5torch10headeronly6detail27GenericPackedTensorAccessorINS5_14TensorAccessorIN3c108ArrayRefIlEEKT_Lm4ENS4_16DefaultPtrTraitsEiEENS_6detail16IndexBoundsCheckILm5EiEESC_Lm5ESD_iEESI_NS6_INS7_ISA_SB_Lm4ESD_iEESH_SB_Lm5ESD_iEEiiiiiiiii,"axG",@progbits,_ZN2at6native12_GLOBAL__N_144conv_depthwise3d_cuda_backward_weight_kernelIddLi1ELi1EEEvN5torch10headeronly6detail27GenericPackedTensorAccessorINS5_14TensorAccessorIN3c108ArrayRefIlEEKT_Lm4ENS4_16DefaultPtrTraitsEiEENS_6detail16IndexBoundsCheckILm5EiEESC_Lm5ESD_iEESI_NS6_INS7_ISA_SB_Lm4ESD_iEESH_SB_Lm5ESD_iEEiiiiiiiii,comdat
	.globl	_ZN2at6native12_GLOBAL__N_144conv_depthwise3d_cuda_backward_weight_kernelIddLi1ELi1EEEvN5torch10headeronly6detail27GenericPackedTensorAccessorINS5_14TensorAccessorIN3c108ArrayRefIlEEKT_Lm4ENS4_16DefaultPtrTraitsEiEENS_6detail16IndexBoundsCheckILm5EiEESC_Lm5ESD_iEESI_NS6_INS7_ISA_SB_Lm4ESD_iEESH_SB_Lm5ESD_iEEiiiiiiiii ; -- Begin function _ZN2at6native12_GLOBAL__N_144conv_depthwise3d_cuda_backward_weight_kernelIddLi1ELi1EEEvN5torch10headeronly6detail27GenericPackedTensorAccessorINS5_14TensorAccessorIN3c108ArrayRefIlEEKT_Lm4ENS4_16DefaultPtrTraitsEiEENS_6detail16IndexBoundsCheckILm5EiEESC_Lm5ESD_iEESI_NS6_INS7_ISA_SB_Lm4ESD_iEESH_SB_Lm5ESD_iEEiiiiiiiii
	.p2align	8
	.type	_ZN2at6native12_GLOBAL__N_144conv_depthwise3d_cuda_backward_weight_kernelIddLi1ELi1EEEvN5torch10headeronly6detail27GenericPackedTensorAccessorINS5_14TensorAccessorIN3c108ArrayRefIlEEKT_Lm4ENS4_16DefaultPtrTraitsEiEENS_6detail16IndexBoundsCheckILm5EiEESC_Lm5ESD_iEESI_NS6_INS7_ISA_SB_Lm4ESD_iEESH_SB_Lm5ESD_iEEiiiiiiiii,@function
_ZN2at6native12_GLOBAL__N_144conv_depthwise3d_cuda_backward_weight_kernelIddLi1ELi1EEEvN5torch10headeronly6detail27GenericPackedTensorAccessorINS5_14TensorAccessorIN3c108ArrayRefIlEEKT_Lm4ENS4_16DefaultPtrTraitsEiEENS_6detail16IndexBoundsCheckILm5EiEESC_Lm5ESD_iEESI_NS6_INS7_ISA_SB_Lm4ESD_iEESH_SB_Lm5ESD_iEEiiiiiiiii: ; @_ZN2at6native12_GLOBAL__N_144conv_depthwise3d_cuda_backward_weight_kernelIddLi1ELi1EEEvN5torch10headeronly6detail27GenericPackedTensorAccessorINS5_14TensorAccessorIN3c108ArrayRefIlEEKT_Lm4ENS4_16DefaultPtrTraitsEiEENS_6detail16IndexBoundsCheckILm5EiEESC_Lm5ESD_iEESI_NS6_INS7_ISA_SB_Lm4ESD_iEESH_SB_Lm5ESD_iEEiiiiiiiii
; %bb.0:
	s_load_b128 s[4:7], s[0:1], 0x70
	s_and_b32 s8, ttmp6, 15
	s_getreg_b32 s9, hwreg(HW_REG_IB_STS2, 6, 4)
	s_load_b128 s[16:19], s[0:1], 0xc
	s_wait_kmcnt 0x0
	s_cvt_f32_u32 s2, s6
	s_delay_alu instid0(SALU_CYCLE_3) | instskip(SKIP_1) | instid1(SALU_CYCLE_1)
	v_rcp_iflag_f32_e32 v1, s2
	s_bfe_u32 s2, ttmp6, 0x4000c
	s_add_co_i32 s2, s2, 1
	s_delay_alu instid0(SALU_CYCLE_1) | instskip(SKIP_1) | instid1(TRANS32_DEP_1)
	s_mul_i32 s2, ttmp9, s2
	v_nop
	v_readfirstlane_b32 s3, v1
	s_add_co_i32 s8, s8, s2
	s_cmp_eq_u32 s9, 0
	s_cselect_b32 s2, ttmp9, s8
	s_mul_f32 s3, s3, 0x4f7ffffe
	s_cvt_f32_u32 s8, s5
	s_sub_co_i32 s9, 0, s6
	s_delay_alu instid0(SALU_CYCLE_1) | instskip(NEXT) | instid1(SALU_CYCLE_1)
	s_cvt_u32_f32 s3, s3
	v_rcp_iflag_f32_e32 v1, s8
	s_delay_alu instid0(SALU_CYCLE_2) | instskip(NEXT) | instid1(SALU_CYCLE_1)
	s_mul_i32 s9, s9, s3
	s_mul_hi_u32 s8, s3, s9
	s_delay_alu instid0(SALU_CYCLE_1) | instskip(SKIP_1) | instid1(TRANS32_DEP_1)
	s_add_co_i32 s3, s3, s8
	v_nop
	v_readfirstlane_b32 s10, v1
	s_mul_hi_u32 s3, s2, s3
	s_cvt_f32_u32 s8, s4
	s_mul_i32 s9, s3, s6
	s_add_co_i32 s11, s3, 1
	s_sub_co_i32 s9, s2, s9
	s_mul_f32 s10, s10, 0x4f7ffffe
	s_sub_co_i32 s12, s9, s6
	s_cmp_ge_u32 s9, s6
	v_rcp_iflag_f32_e32 v1, s8
	s_cselect_b32 s3, s11, s3
	s_cselect_b32 s9, s12, s9
	s_add_co_i32 s11, s3, 1
	s_cmp_ge_u32 s9, s6
	s_cvt_u32_f32 s9, s10
	s_cselect_b32 s20, s11, s3
	s_sub_co_i32 s3, 0, s5
	s_load_b128 s[12:15], s[0:1], 0x3c
	s_mul_i32 s3, s3, s9
	s_delay_alu instid0(SALU_CYCLE_1) | instskip(NEXT) | instid1(SALU_CYCLE_1)
	s_mul_hi_u32 s3, s9, s3
	s_add_co_i32 s9, s9, s3
	s_delay_alu instid0(SALU_CYCLE_1)
	s_mul_hi_u32 s3, s20, s9
	v_nop
	v_readfirstlane_b32 s9, v1
	s_mul_i32 s8, s3, s5
	s_add_co_i32 s10, s3, 1
	s_sub_co_i32 s8, s20, s8
	s_delay_alu instid0(SALU_CYCLE_1)
	s_sub_co_i32 s11, s8, s5
	s_cmp_ge_u32 s8, s5
	s_mul_f32 s9, s9, 0x4f7ffffe
	s_cselect_b32 s3, s10, s3
	s_cselect_b32 s8, s11, s8
	s_add_co_i32 s10, s3, 1
	s_cmp_ge_u32 s8, s5
	s_cvt_u32_f32 s8, s9
	s_cselect_b32 s21, s10, s3
	s_sub_co_i32 s3, 0, s4
	s_delay_alu instid0(SALU_CYCLE_1) | instskip(NEXT) | instid1(SALU_CYCLE_1)
	s_mul_i32 s3, s3, s8
	s_mul_hi_u32 s3, s8, s3
	s_delay_alu instid0(SALU_CYCLE_1) | instskip(NEXT) | instid1(SALU_CYCLE_1)
	s_add_co_i32 s8, s8, s3
	s_mul_hi_u32 s3, s21, s8
	s_delay_alu instid0(SALU_CYCLE_1) | instskip(SKIP_2) | instid1(SALU_CYCLE_1)
	s_mul_i32 s8, s3, s4
	s_add_co_i32 s9, s3, 1
	s_sub_co_i32 s8, s21, s8
	s_sub_co_i32 s10, s8, s4
	s_cmp_ge_u32 s8, s4
	s_cselect_b32 s3, s9, s3
	s_cselect_b32 s8, s10, s8
	s_add_co_i32 s9, s3, 1
	s_cmp_ge_u32 s8, s4
	s_cselect_b32 s27, s9, s3
	s_wait_kmcnt 0x0
	s_abs_i32 s3, s12
	s_abs_i32 s10, s16
	s_cvt_f32_u32 s8, s3
	s_sub_co_i32 s9, 0, s3
	s_delay_alu instid0(SALU_CYCLE_2) | instskip(SKIP_1) | instid1(TRANS32_DEP_1)
	v_rcp_iflag_f32_e32 v1, s8
	v_nop
	v_readfirstlane_b32 s8, v1
	s_mul_f32 s8, s8, 0x4f7ffffe
	s_delay_alu instid0(SALU_CYCLE_3) | instskip(NEXT) | instid1(SALU_CYCLE_3)
	s_cvt_u32_f32 s8, s8
	s_mul_i32 s9, s9, s8
	s_delay_alu instid0(SALU_CYCLE_1) | instskip(NEXT) | instid1(SALU_CYCLE_1)
	s_mul_hi_u32 s9, s8, s9
	s_add_co_i32 s8, s8, s9
	s_xor_b32 s9, s16, s12
	s_mul_hi_u32 s8, s10, s8
	s_ashr_i32 s9, s9, 31
	s_mul_i32 s11, s8, s3
	s_delay_alu instid0(SALU_CYCLE_1)
	s_sub_co_i32 s10, s10, s11
	s_add_co_i32 s11, s8, 1
	s_sub_co_i32 s12, s10, s3
	s_cmp_ge_u32 s10, s3
	s_cselect_b32 s8, s11, s8
	s_cselect_b32 s10, s12, s10
	s_add_co_i32 s11, s8, 1
	s_cmp_ge_u32 s10, s3
	s_cselect_b32 s3, s11, s8
	s_load_b32 s8, s[0:1], 0x68
	s_xor_b32 s3, s3, s9
	s_delay_alu instid0(SALU_CYCLE_1) | instskip(NEXT) | instid1(SALU_CYCLE_1)
	s_sub_co_i32 s23, s3, s9
	s_abs_i32 s22, s23
	s_delay_alu instid0(SALU_CYCLE_1) | instskip(NEXT) | instid1(SALU_CYCLE_3)
	s_cvt_f32_u32 s3, s22
	v_rcp_iflag_f32_e32 v1, s3
	s_mov_b32 s3, 0
	v_nop
	s_delay_alu instid0(TRANS32_DEP_1)
	v_readfirstlane_b32 s24, v1
	s_wait_kmcnt 0x0
	s_cmp_ge_i32 s27, s8
	s_cbranch_scc1 .LBB32_28
; %bb.1:
	s_load_b32 s37, s[0:1], 0x38
	s_add_nc_u64 s[28:29], s[0:1], 0x60
	s_load_b32 s25, s[0:1], 0xc4
	s_load_b128 s[8:11], s[28:29], 0x24
	v_mov_b64_e32 v[2:3], 0
	s_mul_i32 s6, s20, s6
	v_lshrrev_b32_e32 v1, 5, v0
	s_mul_i32 s5, s21, s5
	s_sub_co_i32 s12, s2, s6
	s_mul_i32 s2, s27, s4
	s_sub_co_i32 s16, s20, s5
	s_sub_co_i32 s33, s21, s2
	s_mov_b32 s38, exec_lo
	s_wait_kmcnt 0x0
	s_mul_i32 s37, s37, s17
	s_and_b32 s36, s25, 0xffff
	v_cmpx_gt_i32_e64 s37, v1
	s_cbranch_execz .LBB32_23
; %bb.2:
	s_mul_f32 s2, s24, 0x4f7ffffe
	s_ashr_i32 s6, s27, 31
	s_mov_b32 s39, 0
	s_delay_alu instid0(SALU_CYCLE_1) | instskip(SKIP_1) | instid1(SALU_CYCLE_2)
	s_cvt_u32_f32 s4, s2
	s_sub_co_i32 s2, 0, s22
	s_mul_i32 s5, s2, s4
	s_abs_i32 s2, s27
	s_mul_hi_u32 s20, s4, s5
	s_mov_b32 s5, s3
	s_add_co_i32 s4, s4, s20
	s_ashr_i32 s20, s23, 31
	s_mul_u64 s[4:5], s[2:3], s[4:5]
	s_lshr_b32 s3, s36, 5
	s_mul_i32 s4, s5, s22
	s_xor_b32 s42, s6, s20
	s_sub_co_i32 s2, s2, s4
	s_add_co_i32 s4, s5, 1
	s_sub_co_i32 s6, s2, s22
	s_cmp_ge_u32 s2, s22
	s_cselect_b32 s4, s4, s5
	s_cselect_b32 s2, s6, s2
	s_add_co_i32 s5, s4, 1
	s_cmp_ge_u32 s2, s22
	s_clause 0x1
	s_load_b128 s[20:23], s[0:1], 0x9c
	s_load_b64 s[40:41], s[0:1], 0xac
	s_cselect_b32 s43, s5, s4
	s_abs_i32 s44, s17
	s_abs_i32 s45, s19
	s_cvt_f32_u32 s2, s44
	s_cvt_f32_u32 s4, s45
	s_sub_co_i32 s5, 0, s44
	s_sub_co_i32 s6, 0, s45
	v_rcp_iflag_f32_e32 v2, s2
	v_rcp_iflag_f32_e32 v3, s4
	s_delay_alu instid0(TRANS32_DEP_2) | instskip(NEXT) | instid1(TRANS32_DEP_1)
	v_readfirstlane_b32 s2, v2
	v_readfirstlane_b32 s4, v3
	s_wait_kmcnt 0x0
	s_mul_i32 s23, s33, s23
	s_mul_f32 s2, s2, 0x4f7ffffe
	s_mul_f32 s4, s4, 0x4f7ffffe
	s_delay_alu instid0(SALU_CYCLE_2) | instskip(NEXT) | instid1(SALU_CYCLE_2)
	s_cvt_u32_f32 s2, s2
	s_cvt_u32_f32 s4, s4
	s_delay_alu instid0(SALU_CYCLE_2) | instskip(NEXT) | instid1(SALU_CYCLE_2)
	s_mul_i32 s5, s5, s2
	s_mul_i32 s6, s6, s4
	s_mul_hi_u32 s5, s2, s5
	s_delay_alu instid0(SALU_CYCLE_1) | instskip(SKIP_4) | instid1(VALU_DEP_2)
	s_add_co_i32 s2, s2, s5
	s_mul_hi_u32 s5, s4, s6
	v_mul_hi_u32 v2, v1, s2
	v_and_b32_e32 v4, 31, v0
	s_add_co_i32 s4, s4, s5
	v_add_nc_u32_e32 v7, 1, v2
	s_delay_alu instid0(VALU_DEP_2)
	v_mul_hi_u32 v3, v4, s4
	v_mul_lo_u32 v5, v2, s44
	s_clause 0x3
	s_load_b64 s[30:31], s[0:1], 0x0
	s_load_b96 s[4:6], s[0:1], 0x1c
	s_load_b64 s[34:35], s[0:1], 0x30
	s_load_b96 s[24:26], s[0:1], 0x4c
	s_wait_xcnt 0x0
	s_ashr_i32 s1, s17, 31
	s_delay_alu instid0(VALU_DEP_2) | instskip(NEXT) | instid1(VALU_DEP_1)
	v_mul_lo_u32 v6, v3, s45
	v_dual_sub_nc_u32 v5, v1, v5 :: v_dual_sub_nc_u32 v6, v4, v6
	s_delay_alu instid0(VALU_DEP_1)
	v_cmp_le_u32_e32 vcc_lo, s44, v5
	s_wait_kmcnt 0x0
	s_mul_i32 s0, s5, s27
	s_sub_co_i32 s5, s23, s20
	v_cmp_le_u32_e64 s2, s45, v6
	v_cndmask_b32_e32 v2, v2, v7, vcc_lo
	v_subrev_nc_u32_e32 v7, s44, v5
	v_add_nc_u32_e32 v8, 1, v3
	v_subrev_nc_u32_e32 v9, s45, v6
	s_delay_alu instid0(VALU_DEP_3) | instskip(NEXT) | instid1(VALU_DEP_2)
	v_dual_cndmask_b32 v5, v5, v7, vcc_lo :: v_dual_add_nc_u32 v7, 1, v2
	v_dual_cndmask_b32 v3, v3, v8, s2 :: v_dual_cndmask_b32 v6, v6, v9, s2
	s_ashr_i32 s2, s19, 31
	s_delay_alu instid0(VALU_DEP_2) | instskip(NEXT) | instid1(VALU_DEP_2)
	v_cmp_le_u32_e32 vcc_lo, s44, v5
	v_dual_mov_b32 v5, 0 :: v_dual_add_nc_u32 v8, 1, v3
	v_cndmask_b32_e32 v2, v2, v7, vcc_lo
	v_cmp_le_u32_e32 vcc_lo, s45, v6
	s_delay_alu instid0(VALU_DEP_3) | instskip(NEXT) | instid1(VALU_DEP_1)
	v_cndmask_b32_e32 v3, v3, v8, vcc_lo
	v_xor_b32_e32 v7, s2, v3
	s_delay_alu instid0(VALU_DEP_1) | instskip(SKIP_1) | instid1(SALU_CYCLE_1)
	v_subrev_nc_u32_e32 v17, s2, v7
	s_mul_i32 s2, s12, s41
	s_sub_co_i32 s20, s2, s22
	s_delay_alu instid0(VALU_DEP_1) | instskip(SKIP_3) | instid1(VALU_DEP_4)
	v_mul_lo_u32 v7, v17, s19
	v_xor_b32_e32 v6, s1, v2
	v_mov_b64_e32 v[2:3], 0
	v_cmp_gt_i32_e32 vcc_lo, s18, v17
	v_sub_nc_u32_e32 v19, v4, v7
	s_delay_alu instid0(VALU_DEP_4) | instskip(SKIP_1) | instid1(SALU_CYCLE_1)
	v_subrev_nc_u32_e32 v16, s1, v6
	s_xor_b32 s1, s43, s42
	s_sub_co_i32 s1, s1, s42
	s_delay_alu instid0(VALU_DEP_1)
	v_mul_lo_u32 v6, v16, s17
	s_mul_i32 s42, s25, s1
	s_ashr_i32 s1, s0, 31
	s_ashr_i32 s43, s42, 31
	s_lshl_b64 s[0:1], s[0:1], 3
	s_lshl_b64 s[42:43], s[42:43], 3
	s_add_nc_u64 s[30:31], s[30:31], s[0:1]
	s_mul_i32 s0, s16, s40
	s_add_nc_u64 s[34:35], s[34:35], s[42:43]
	s_sub_co_i32 s21, s0, s21
	s_delay_alu instid0(VALU_DEP_1)
	v_dual_sub_nc_u32 v18, v1, v6 :: v_dual_lshlrev_b32 v6, 3, v4
	s_branch .LBB32_6
.LBB32_3:                               ;   in Loop: Header=BB32_6 Depth=1
	s_or_b32 exec_lo, exec_lo, s25
.LBB32_4:                               ;   in Loop: Header=BB32_6 Depth=1
	s_delay_alu instid0(SALU_CYCLE_1)
	s_or_b32 exec_lo, exec_lo, s23
.LBB32_5:                               ;   in Loop: Header=BB32_6 Depth=1
	s_delay_alu instid0(SALU_CYCLE_1) | instskip(SKIP_1) | instid1(VALU_DEP_1)
	s_or_b32 exec_lo, exec_lo, s22
	v_dual_add_nc_u32 v1, s3, v1 :: v_dual_add_nc_u32 v18, s3, v18
	v_cmp_le_i32_e64 s0, s37, v1
	s_or_b32 s39, s0, s39
	s_delay_alu instid0(SALU_CYCLE_1)
	s_and_not1_b32 exec_lo, exec_lo, s39
	s_cbranch_execz .LBB32_22
.LBB32_6:                               ; =>This Loop Header: Depth=1
                                        ;     Child Loop BB32_8 Depth 2
                                        ;     Child Loop BB32_14 Depth 2
                                        ;       Child Loop BB32_20 Depth 3
	s_mov_b32 s1, exec_lo
	s_delay_alu instid0(VALU_DEP_1)
	v_cmpx_le_i32_e64 s17, v18
	s_cbranch_execz .LBB32_10
; %bb.7:                                ;   in Loop: Header=BB32_6 Depth=1
	s_mov_b32 s2, 0
.LBB32_8:                               ;   Parent Loop BB32_6 Depth=1
                                        ; =>  This Inner Loop Header: Depth=2
	v_subrev_nc_u32_e32 v18, s17, v18
	v_add_nc_u32_e32 v16, 1, v16
	s_delay_alu instid0(VALU_DEP_2) | instskip(SKIP_1) | instid1(SALU_CYCLE_1)
	v_cmp_gt_i32_e64 s0, s17, v18
	s_or_b32 s2, s0, s2
	s_and_not1_b32 exec_lo, exec_lo, s2
	s_cbranch_execnz .LBB32_8
; %bb.9:                                ;   in Loop: Header=BB32_6 Depth=1
	s_or_b32 exec_lo, exec_lo, s2
.LBB32_10:                              ;   in Loop: Header=BB32_6 Depth=1
	s_delay_alu instid0(SALU_CYCLE_1) | instskip(SKIP_1) | instid1(VALU_DEP_1)
	s_or_b32 exec_lo, exec_lo, s1
	v_mad_u32 v4, v18, s11, s5
	v_cmp_lt_i32_e64 s0, -1, v4
	v_cmp_gt_i32_e64 s1, s13, v4
	s_and_b32 s0, s0, s1
	s_delay_alu instid0(SALU_CYCLE_1)
	s_and_saveexec_b32 s22, s0
	s_cbranch_execz .LBB32_5
; %bb.11:                               ;   in Loop: Header=BB32_6 Depth=1
	s_and_saveexec_b32 s23, vcc_lo
	s_cbranch_execz .LBB32_4
; %bb.12:                               ;   in Loop: Header=BB32_6 Depth=1
	v_mul_lo_u32 v8, s4, v16
	v_mul_lo_u32 v10, s24, v16
	v_mul_lo_u32 v12, s6, v18
	v_mul_lo_u32 v14, s26, v4
	v_dual_mov_b32 v7, v5 :: v_dual_mov_b32 v20, v17
	s_mov_b32 s25, 0
	s_delay_alu instid0(VALU_DEP_4) | instskip(NEXT) | instid1(VALU_DEP_3)
	v_dual_ashrrev_i32 v9, 31, v8 :: v_dual_ashrrev_i32 v11, 31, v10
	v_dual_ashrrev_i32 v13, 31, v12 :: v_dual_ashrrev_i32 v15, 31, v14
	s_delay_alu instid0(VALU_DEP_2) | instskip(NEXT) | instid1(VALU_DEP_3)
	v_lshl_add_u64 v[8:9], v[8:9], 3, s[30:31]
	v_lshl_add_u64 v[10:11], v[10:11], 3, s[34:35]
	s_delay_alu instid0(VALU_DEP_2) | instskip(NEXT) | instid1(VALU_DEP_2)
	v_lshl_add_u64 v[12:13], v[12:13], 3, v[8:9]
	v_lshl_add_u64 v[8:9], v[14:15], 3, v[10:11]
	s_delay_alu instid0(VALU_DEP_2)
	v_add_nc_u64_e32 v[10:11], v[12:13], v[6:7]
	v_mov_b32_e32 v7, v19
	s_branch .LBB32_14
.LBB32_13:                              ;   in Loop: Header=BB32_14 Depth=2
	s_or_b32 exec_lo, exec_lo, s1
	s_wait_loadcnt 0x0
	v_fmac_f64_e32 v[2:3], v[12:13], v[14:15]
	v_cmp_le_i32_e64 s0, s18, v20
	v_add_nc_u64_e32 v[10:11], 0x100, v[10:11]
	s_or_b32 s25, s0, s25
	s_delay_alu instid0(SALU_CYCLE_1)
	s_and_not1_b32 exec_lo, exec_lo, s25
	s_cbranch_execz .LBB32_3
.LBB32_14:                              ;   Parent Loop BB32_6 Depth=1
                                        ; =>  This Loop Header: Depth=2
                                        ;       Child Loop BB32_20 Depth 3
	global_load_b64 v[12:13], v[10:11], off
	v_mov_b64_e32 v[14:15], 0
	v_add_nc_u32_e32 v4, s20, v7
	s_mov_b32 s40, exec_lo
	s_wait_xcnt 0x0
	s_delay_alu instid0(VALU_DEP_1)
	v_cmpx_lt_i32_e32 -1, v4
	s_cbranch_execz .LBB32_18
; %bb.15:                               ;   in Loop: Header=BB32_14 Depth=2
	v_add_nc_u32_e32 v21, s21, v20
	v_cmp_gt_i32_e64 s0, s15, v4
	v_mov_b64_e32 v[14:15], 0
	s_delay_alu instid0(VALU_DEP_3) | instskip(SKIP_2) | instid1(SALU_CYCLE_1)
	v_cmp_gt_i32_e64 s1, s14, v21
	v_cmp_lt_i32_e64 s2, -1, v21
	s_and_b32 s0, s0, s1
	s_and_b32 s1, s0, s2
	s_delay_alu instid0(SALU_CYCLE_1)
	s_and_saveexec_b32 s0, s1
	s_cbranch_execz .LBB32_17
; %bb.16:                               ;   in Loop: Header=BB32_14 Depth=2
	v_mad_u32 v4, v21, s15, v4
	s_delay_alu instid0(VALU_DEP_1)
	v_lshl_add_u64 v[14:15], v[4:5], 3, v[8:9]
	global_load_b64 v[14:15], v[14:15], off
.LBB32_17:                              ;   in Loop: Header=BB32_14 Depth=2
	s_wait_xcnt 0x0
	s_or_b32 exec_lo, exec_lo, s0
.LBB32_18:                              ;   in Loop: Header=BB32_14 Depth=2
	s_delay_alu instid0(SALU_CYCLE_1) | instskip(SKIP_2) | instid1(VALU_DEP_1)
	s_or_b32 exec_lo, exec_lo, s40
	v_add_nc_u32_e32 v7, 32, v7
	s_mov_b32 s1, exec_lo
	v_cmpx_le_i32_e64 s19, v7
	s_cbranch_execz .LBB32_13
; %bb.19:                               ;   in Loop: Header=BB32_14 Depth=2
	s_mov_b32 s2, 0
.LBB32_20:                              ;   Parent Loop BB32_6 Depth=1
                                        ;     Parent Loop BB32_14 Depth=2
                                        ; =>    This Inner Loop Header: Depth=3
	v_subrev_nc_u32_e32 v7, s19, v7
	v_add_nc_u32_e32 v20, 1, v20
	s_delay_alu instid0(VALU_DEP_2) | instskip(SKIP_1) | instid1(SALU_CYCLE_1)
	v_cmp_gt_i32_e64 s0, s19, v7
	s_or_b32 s2, s0, s2
	s_and_not1_b32 exec_lo, exec_lo, s2
	s_cbranch_execnz .LBB32_20
; %bb.21:                               ;   in Loop: Header=BB32_14 Depth=2
	s_or_b32 exec_lo, exec_lo, s2
	s_branch .LBB32_13
.LBB32_22:
	s_or_b32 exec_lo, exec_lo, s39
.LBB32_23:
	s_delay_alu instid0(SALU_CYCLE_1) | instskip(SKIP_3) | instid1(SALU_CYCLE_1)
	s_or_b32 exec_lo, exec_lo, s38
	s_load_b64 s[0:1], s[28:29], 0x0
	v_lshl_add_u32 v1, v0, 3, 0
	s_bcnt1_i32_b32 s2, s36
	s_cmp_lg_u32 s2, 1
	s_mov_b32 s2, -1
	ds_store_b64 v1, v[2:3]
	s_wait_dscnt 0x0
	s_barrier_signal -1
	s_barrier_wait -1
	s_cbranch_scc1 .LBB32_32
; %bb.24:
	s_and_not1_b32 vcc_lo, exec_lo, s2
	s_cbranch_vccnz .LBB32_28
.LBB32_25:
	s_cmp_lt_u32 s36, 2
	s_cbranch_scc0 .LBB32_30
.LBB32_26:
	s_mov_b32 s2, exec_lo
	v_cmpx_eq_u32_e32 0, v0
	s_cbranch_execz .LBB32_28
; %bb.27:
	s_mul_i32 s2, s7, s27
	s_mul_i32 s4, s8, s33
	s_ashr_i32 s3, s2, 31
	s_ashr_i32 s5, s4, 31
	s_lshl_b64 s[2:3], s[2:3], 3
	s_wait_kmcnt 0x0
	s_add_nc_u64 s[0:1], s[0:1], s[2:3]
	s_lshl_b64 s[2:3], s[4:5], 3
	s_mul_i32 s4, s10, s12
	s_delay_alu instid0(SALU_CYCLE_1) | instskip(SKIP_4) | instid1(SALU_CYCLE_1)
	v_dual_mov_b32 v0, 0 :: v_dual_mov_b32 v2, s4
	s_add_nc_u64 s[0:1], s[0:1], s[2:3]
	s_mul_i32 s2, s9, s16
	ds_load_b64 v[0:1], v0
	s_ashr_i32 s3, s2, 31
	s_lshl_b64 s[2:3], s[2:3], 3
	s_delay_alu instid0(SALU_CYCLE_1)
	s_add_nc_u64 s[0:1], s[0:1], s[2:3]
	s_wait_dscnt 0x0
	global_store_b64 v2, v[0:1], s[0:1] scale_offset
.LBB32_28:
	s_endpgm
.LBB32_29:                              ;   in Loop: Header=BB32_30 Depth=1
	s_or_b32 exec_lo, exec_lo, s3
	s_cmp_lt_u32 s36, 4
	s_mov_b32 s36, s2
	s_wait_dscnt 0x0
	s_barrier_signal -1
	s_barrier_wait -1
	s_cbranch_scc1 .LBB32_26
.LBB32_30:                              ; =>This Inner Loop Header: Depth=1
	s_lshr_b32 s2, s36, 1
	s_mov_b32 s3, exec_lo
	v_cmpx_gt_u32_e64 s2, v0
	s_cbranch_execz .LBB32_29
; %bb.31:                               ;   in Loop: Header=BB32_30 Depth=1
	v_lshl_add_u32 v2, s2, 3, v1
	ds_load_b64 v[2:3], v2
	ds_load_b64 v[4:5], v1
	s_wait_dscnt 0x0
	v_add_f64_e32 v[2:3], v[2:3], v[4:5]
	ds_store_b64 v1, v[2:3]
	s_branch .LBB32_29
.LBB32_32:
	s_trap 2
	; divergent unreachable
	s_cbranch_execz .LBB32_25
	s_branch .LBB32_28
	.section	.rodata,"a",@progbits
	.p2align	6, 0x0
	.amdhsa_kernel _ZN2at6native12_GLOBAL__N_144conv_depthwise3d_cuda_backward_weight_kernelIddLi1ELi1EEEvN5torch10headeronly6detail27GenericPackedTensorAccessorINS5_14TensorAccessorIN3c108ArrayRefIlEEKT_Lm4ENS4_16DefaultPtrTraitsEiEENS_6detail16IndexBoundsCheckILm5EiEESC_Lm5ESD_iEESI_NS6_INS7_ISA_SB_Lm4ESD_iEESH_SB_Lm5ESD_iEEiiiiiiiii
		.amdhsa_group_segment_fixed_size 0
		.amdhsa_private_segment_fixed_size 0
		.amdhsa_kernarg_size 440
		.amdhsa_user_sgpr_count 2
		.amdhsa_user_sgpr_dispatch_ptr 0
		.amdhsa_user_sgpr_queue_ptr 0
		.amdhsa_user_sgpr_kernarg_segment_ptr 1
		.amdhsa_user_sgpr_dispatch_id 0
		.amdhsa_user_sgpr_kernarg_preload_length 0
		.amdhsa_user_sgpr_kernarg_preload_offset 0
		.amdhsa_user_sgpr_private_segment_size 0
		.amdhsa_wavefront_size32 1
		.amdhsa_uses_dynamic_stack 0
		.amdhsa_enable_private_segment 0
		.amdhsa_system_sgpr_workgroup_id_x 1
		.amdhsa_system_sgpr_workgroup_id_y 0
		.amdhsa_system_sgpr_workgroup_id_z 0
		.amdhsa_system_sgpr_workgroup_info 0
		.amdhsa_system_vgpr_workitem_id 0
		.amdhsa_next_free_vgpr 22
		.amdhsa_next_free_sgpr 46
		.amdhsa_named_barrier_count 0
		.amdhsa_reserve_vcc 1
		.amdhsa_float_round_mode_32 0
		.amdhsa_float_round_mode_16_64 0
		.amdhsa_float_denorm_mode_32 3
		.amdhsa_float_denorm_mode_16_64 3
		.amdhsa_fp16_overflow 0
		.amdhsa_memory_ordered 1
		.amdhsa_forward_progress 1
		.amdhsa_inst_pref_size 17
		.amdhsa_round_robin_scheduling 0
		.amdhsa_exception_fp_ieee_invalid_op 0
		.amdhsa_exception_fp_denorm_src 0
		.amdhsa_exception_fp_ieee_div_zero 0
		.amdhsa_exception_fp_ieee_overflow 0
		.amdhsa_exception_fp_ieee_underflow 0
		.amdhsa_exception_fp_ieee_inexact 0
		.amdhsa_exception_int_div_zero 0
	.end_amdhsa_kernel
	.section	.text._ZN2at6native12_GLOBAL__N_144conv_depthwise3d_cuda_backward_weight_kernelIddLi1ELi1EEEvN5torch10headeronly6detail27GenericPackedTensorAccessorINS5_14TensorAccessorIN3c108ArrayRefIlEEKT_Lm4ENS4_16DefaultPtrTraitsEiEENS_6detail16IndexBoundsCheckILm5EiEESC_Lm5ESD_iEESI_NS6_INS7_ISA_SB_Lm4ESD_iEESH_SB_Lm5ESD_iEEiiiiiiiii,"axG",@progbits,_ZN2at6native12_GLOBAL__N_144conv_depthwise3d_cuda_backward_weight_kernelIddLi1ELi1EEEvN5torch10headeronly6detail27GenericPackedTensorAccessorINS5_14TensorAccessorIN3c108ArrayRefIlEEKT_Lm4ENS4_16DefaultPtrTraitsEiEENS_6detail16IndexBoundsCheckILm5EiEESC_Lm5ESD_iEESI_NS6_INS7_ISA_SB_Lm4ESD_iEESH_SB_Lm5ESD_iEEiiiiiiiii,comdat
.Lfunc_end32:
	.size	_ZN2at6native12_GLOBAL__N_144conv_depthwise3d_cuda_backward_weight_kernelIddLi1ELi1EEEvN5torch10headeronly6detail27GenericPackedTensorAccessorINS5_14TensorAccessorIN3c108ArrayRefIlEEKT_Lm4ENS4_16DefaultPtrTraitsEiEENS_6detail16IndexBoundsCheckILm5EiEESC_Lm5ESD_iEESI_NS6_INS7_ISA_SB_Lm4ESD_iEESH_SB_Lm5ESD_iEEiiiiiiiii, .Lfunc_end32-_ZN2at6native12_GLOBAL__N_144conv_depthwise3d_cuda_backward_weight_kernelIddLi1ELi1EEEvN5torch10headeronly6detail27GenericPackedTensorAccessorINS5_14TensorAccessorIN3c108ArrayRefIlEEKT_Lm4ENS4_16DefaultPtrTraitsEiEENS_6detail16IndexBoundsCheckILm5EiEESC_Lm5ESD_iEESI_NS6_INS7_ISA_SB_Lm4ESD_iEESH_SB_Lm5ESD_iEEiiiiiiiii
                                        ; -- End function
	.set _ZN2at6native12_GLOBAL__N_144conv_depthwise3d_cuda_backward_weight_kernelIddLi1ELi1EEEvN5torch10headeronly6detail27GenericPackedTensorAccessorINS5_14TensorAccessorIN3c108ArrayRefIlEEKT_Lm4ENS4_16DefaultPtrTraitsEiEENS_6detail16IndexBoundsCheckILm5EiEESC_Lm5ESD_iEESI_NS6_INS7_ISA_SB_Lm4ESD_iEESH_SB_Lm5ESD_iEEiiiiiiiii.num_vgpr, 22
	.set _ZN2at6native12_GLOBAL__N_144conv_depthwise3d_cuda_backward_weight_kernelIddLi1ELi1EEEvN5torch10headeronly6detail27GenericPackedTensorAccessorINS5_14TensorAccessorIN3c108ArrayRefIlEEKT_Lm4ENS4_16DefaultPtrTraitsEiEENS_6detail16IndexBoundsCheckILm5EiEESC_Lm5ESD_iEESI_NS6_INS7_ISA_SB_Lm4ESD_iEESH_SB_Lm5ESD_iEEiiiiiiiii.num_agpr, 0
	.set _ZN2at6native12_GLOBAL__N_144conv_depthwise3d_cuda_backward_weight_kernelIddLi1ELi1EEEvN5torch10headeronly6detail27GenericPackedTensorAccessorINS5_14TensorAccessorIN3c108ArrayRefIlEEKT_Lm4ENS4_16DefaultPtrTraitsEiEENS_6detail16IndexBoundsCheckILm5EiEESC_Lm5ESD_iEESI_NS6_INS7_ISA_SB_Lm4ESD_iEESH_SB_Lm5ESD_iEEiiiiiiiii.numbered_sgpr, 46
	.set _ZN2at6native12_GLOBAL__N_144conv_depthwise3d_cuda_backward_weight_kernelIddLi1ELi1EEEvN5torch10headeronly6detail27GenericPackedTensorAccessorINS5_14TensorAccessorIN3c108ArrayRefIlEEKT_Lm4ENS4_16DefaultPtrTraitsEiEENS_6detail16IndexBoundsCheckILm5EiEESC_Lm5ESD_iEESI_NS6_INS7_ISA_SB_Lm4ESD_iEESH_SB_Lm5ESD_iEEiiiiiiiii.num_named_barrier, 0
	.set _ZN2at6native12_GLOBAL__N_144conv_depthwise3d_cuda_backward_weight_kernelIddLi1ELi1EEEvN5torch10headeronly6detail27GenericPackedTensorAccessorINS5_14TensorAccessorIN3c108ArrayRefIlEEKT_Lm4ENS4_16DefaultPtrTraitsEiEENS_6detail16IndexBoundsCheckILm5EiEESC_Lm5ESD_iEESI_NS6_INS7_ISA_SB_Lm4ESD_iEESH_SB_Lm5ESD_iEEiiiiiiiii.private_seg_size, 0
	.set _ZN2at6native12_GLOBAL__N_144conv_depthwise3d_cuda_backward_weight_kernelIddLi1ELi1EEEvN5torch10headeronly6detail27GenericPackedTensorAccessorINS5_14TensorAccessorIN3c108ArrayRefIlEEKT_Lm4ENS4_16DefaultPtrTraitsEiEENS_6detail16IndexBoundsCheckILm5EiEESC_Lm5ESD_iEESI_NS6_INS7_ISA_SB_Lm4ESD_iEESH_SB_Lm5ESD_iEEiiiiiiiii.uses_vcc, 1
	.set _ZN2at6native12_GLOBAL__N_144conv_depthwise3d_cuda_backward_weight_kernelIddLi1ELi1EEEvN5torch10headeronly6detail27GenericPackedTensorAccessorINS5_14TensorAccessorIN3c108ArrayRefIlEEKT_Lm4ENS4_16DefaultPtrTraitsEiEENS_6detail16IndexBoundsCheckILm5EiEESC_Lm5ESD_iEESI_NS6_INS7_ISA_SB_Lm4ESD_iEESH_SB_Lm5ESD_iEEiiiiiiiii.uses_flat_scratch, 0
	.set _ZN2at6native12_GLOBAL__N_144conv_depthwise3d_cuda_backward_weight_kernelIddLi1ELi1EEEvN5torch10headeronly6detail27GenericPackedTensorAccessorINS5_14TensorAccessorIN3c108ArrayRefIlEEKT_Lm4ENS4_16DefaultPtrTraitsEiEENS_6detail16IndexBoundsCheckILm5EiEESC_Lm5ESD_iEESI_NS6_INS7_ISA_SB_Lm4ESD_iEESH_SB_Lm5ESD_iEEiiiiiiiii.has_dyn_sized_stack, 0
	.set _ZN2at6native12_GLOBAL__N_144conv_depthwise3d_cuda_backward_weight_kernelIddLi1ELi1EEEvN5torch10headeronly6detail27GenericPackedTensorAccessorINS5_14TensorAccessorIN3c108ArrayRefIlEEKT_Lm4ENS4_16DefaultPtrTraitsEiEENS_6detail16IndexBoundsCheckILm5EiEESC_Lm5ESD_iEESI_NS6_INS7_ISA_SB_Lm4ESD_iEESH_SB_Lm5ESD_iEEiiiiiiiii.has_recursion, 0
	.set _ZN2at6native12_GLOBAL__N_144conv_depthwise3d_cuda_backward_weight_kernelIddLi1ELi1EEEvN5torch10headeronly6detail27GenericPackedTensorAccessorINS5_14TensorAccessorIN3c108ArrayRefIlEEKT_Lm4ENS4_16DefaultPtrTraitsEiEENS_6detail16IndexBoundsCheckILm5EiEESC_Lm5ESD_iEESI_NS6_INS7_ISA_SB_Lm4ESD_iEESH_SB_Lm5ESD_iEEiiiiiiiii.has_indirect_call, 0
	.section	.AMDGPU.csdata,"",@progbits
; Kernel info:
; codeLenInByte = 2088
; TotalNumSgprs: 48
; NumVgprs: 22
; ScratchSize: 0
; MemoryBound: 0
; FloatMode: 240
; IeeeMode: 1
; LDSByteSize: 0 bytes/workgroup (compile time only)
; SGPRBlocks: 0
; VGPRBlocks: 1
; NumSGPRsForWavesPerEU: 48
; NumVGPRsForWavesPerEU: 22
; NamedBarCnt: 0
; Occupancy: 16
; WaveLimiterHint : 1
; COMPUTE_PGM_RSRC2:SCRATCH_EN: 0
; COMPUTE_PGM_RSRC2:USER_SGPR: 2
; COMPUTE_PGM_RSRC2:TRAP_HANDLER: 0
; COMPUTE_PGM_RSRC2:TGID_X_EN: 1
; COMPUTE_PGM_RSRC2:TGID_Y_EN: 0
; COMPUTE_PGM_RSRC2:TGID_Z_EN: 0
; COMPUTE_PGM_RSRC2:TIDIG_COMP_CNT: 0
	.section	.text._ZN2at6native12_GLOBAL__N_144conv_depthwise3d_cuda_backward_weight_kernelIddLi2ELi2EEEvN5torch10headeronly6detail27GenericPackedTensorAccessorINS5_14TensorAccessorIN3c108ArrayRefIlEEKT_Lm4ENS4_16DefaultPtrTraitsEiEENS_6detail16IndexBoundsCheckILm5EiEESC_Lm5ESD_iEESI_NS6_INS7_ISA_SB_Lm4ESD_iEESH_SB_Lm5ESD_iEEiiiiiiiii,"axG",@progbits,_ZN2at6native12_GLOBAL__N_144conv_depthwise3d_cuda_backward_weight_kernelIddLi2ELi2EEEvN5torch10headeronly6detail27GenericPackedTensorAccessorINS5_14TensorAccessorIN3c108ArrayRefIlEEKT_Lm4ENS4_16DefaultPtrTraitsEiEENS_6detail16IndexBoundsCheckILm5EiEESC_Lm5ESD_iEESI_NS6_INS7_ISA_SB_Lm4ESD_iEESH_SB_Lm5ESD_iEEiiiiiiiii,comdat
	.globl	_ZN2at6native12_GLOBAL__N_144conv_depthwise3d_cuda_backward_weight_kernelIddLi2ELi2EEEvN5torch10headeronly6detail27GenericPackedTensorAccessorINS5_14TensorAccessorIN3c108ArrayRefIlEEKT_Lm4ENS4_16DefaultPtrTraitsEiEENS_6detail16IndexBoundsCheckILm5EiEESC_Lm5ESD_iEESI_NS6_INS7_ISA_SB_Lm4ESD_iEESH_SB_Lm5ESD_iEEiiiiiiiii ; -- Begin function _ZN2at6native12_GLOBAL__N_144conv_depthwise3d_cuda_backward_weight_kernelIddLi2ELi2EEEvN5torch10headeronly6detail27GenericPackedTensorAccessorINS5_14TensorAccessorIN3c108ArrayRefIlEEKT_Lm4ENS4_16DefaultPtrTraitsEiEENS_6detail16IndexBoundsCheckILm5EiEESC_Lm5ESD_iEESI_NS6_INS7_ISA_SB_Lm4ESD_iEESH_SB_Lm5ESD_iEEiiiiiiiii
	.p2align	8
	.type	_ZN2at6native12_GLOBAL__N_144conv_depthwise3d_cuda_backward_weight_kernelIddLi2ELi2EEEvN5torch10headeronly6detail27GenericPackedTensorAccessorINS5_14TensorAccessorIN3c108ArrayRefIlEEKT_Lm4ENS4_16DefaultPtrTraitsEiEENS_6detail16IndexBoundsCheckILm5EiEESC_Lm5ESD_iEESI_NS6_INS7_ISA_SB_Lm4ESD_iEESH_SB_Lm5ESD_iEEiiiiiiiii,@function
_ZN2at6native12_GLOBAL__N_144conv_depthwise3d_cuda_backward_weight_kernelIddLi2ELi2EEEvN5torch10headeronly6detail27GenericPackedTensorAccessorINS5_14TensorAccessorIN3c108ArrayRefIlEEKT_Lm4ENS4_16DefaultPtrTraitsEiEENS_6detail16IndexBoundsCheckILm5EiEESC_Lm5ESD_iEESI_NS6_INS7_ISA_SB_Lm4ESD_iEESH_SB_Lm5ESD_iEEiiiiiiiii: ; @_ZN2at6native12_GLOBAL__N_144conv_depthwise3d_cuda_backward_weight_kernelIddLi2ELi2EEEvN5torch10headeronly6detail27GenericPackedTensorAccessorINS5_14TensorAccessorIN3c108ArrayRefIlEEKT_Lm4ENS4_16DefaultPtrTraitsEiEENS_6detail16IndexBoundsCheckILm5EiEESC_Lm5ESD_iEESI_NS6_INS7_ISA_SB_Lm4ESD_iEESH_SB_Lm5ESD_iEEiiiiiiiii
; %bb.0:
	s_load_b128 s[4:7], s[0:1], 0x70
	s_and_b32 s8, ttmp6, 15
	s_getreg_b32 s9, hwreg(HW_REG_IB_STS2, 6, 4)
	s_load_b128 s[16:19], s[0:1], 0xc
	s_wait_kmcnt 0x0
	s_cvt_f32_u32 s2, s6
	s_delay_alu instid0(SALU_CYCLE_3) | instskip(SKIP_1) | instid1(SALU_CYCLE_1)
	v_rcp_iflag_f32_e32 v1, s2
	s_bfe_u32 s2, ttmp6, 0x4000c
	s_add_co_i32 s2, s2, 1
	s_delay_alu instid0(SALU_CYCLE_1) | instskip(SKIP_1) | instid1(TRANS32_DEP_1)
	s_mul_i32 s2, ttmp9, s2
	v_nop
	v_readfirstlane_b32 s3, v1
	s_add_co_i32 s8, s8, s2
	s_cmp_eq_u32 s9, 0
	s_cselect_b32 s2, ttmp9, s8
	s_mul_f32 s3, s3, 0x4f7ffffe
	s_cvt_f32_u32 s8, s5
	s_sub_co_i32 s9, 0, s6
	s_delay_alu instid0(SALU_CYCLE_1) | instskip(NEXT) | instid1(SALU_CYCLE_1)
	s_cvt_u32_f32 s3, s3
	v_rcp_iflag_f32_e32 v1, s8
	s_delay_alu instid0(SALU_CYCLE_2) | instskip(NEXT) | instid1(SALU_CYCLE_1)
	s_mul_i32 s9, s9, s3
	s_mul_hi_u32 s8, s3, s9
	s_delay_alu instid0(SALU_CYCLE_1) | instskip(SKIP_1) | instid1(TRANS32_DEP_1)
	s_add_co_i32 s3, s3, s8
	v_nop
	v_readfirstlane_b32 s10, v1
	s_mul_hi_u32 s3, s2, s3
	s_cvt_f32_u32 s8, s4
	s_mul_i32 s9, s3, s6
	s_add_co_i32 s11, s3, 1
	s_sub_co_i32 s9, s2, s9
	s_mul_f32 s10, s10, 0x4f7ffffe
	s_sub_co_i32 s12, s9, s6
	s_cmp_ge_u32 s9, s6
	v_rcp_iflag_f32_e32 v1, s8
	s_cselect_b32 s3, s11, s3
	s_cselect_b32 s9, s12, s9
	s_add_co_i32 s11, s3, 1
	s_cmp_ge_u32 s9, s6
	s_cvt_u32_f32 s9, s10
	s_cselect_b32 s20, s11, s3
	s_sub_co_i32 s3, 0, s5
	s_load_b128 s[12:15], s[0:1], 0x3c
	s_mul_i32 s3, s3, s9
	s_delay_alu instid0(SALU_CYCLE_1) | instskip(NEXT) | instid1(SALU_CYCLE_1)
	s_mul_hi_u32 s3, s9, s3
	s_add_co_i32 s9, s9, s3
	s_delay_alu instid0(SALU_CYCLE_1)
	s_mul_hi_u32 s3, s20, s9
	v_nop
	v_readfirstlane_b32 s9, v1
	s_mul_i32 s8, s3, s5
	s_add_co_i32 s10, s3, 1
	s_sub_co_i32 s8, s20, s8
	s_delay_alu instid0(SALU_CYCLE_1)
	s_sub_co_i32 s11, s8, s5
	s_cmp_ge_u32 s8, s5
	s_mul_f32 s9, s9, 0x4f7ffffe
	s_cselect_b32 s3, s10, s3
	s_cselect_b32 s8, s11, s8
	s_add_co_i32 s10, s3, 1
	s_cmp_ge_u32 s8, s5
	s_cvt_u32_f32 s8, s9
	s_cselect_b32 s21, s10, s3
	s_sub_co_i32 s3, 0, s4
	s_delay_alu instid0(SALU_CYCLE_1) | instskip(NEXT) | instid1(SALU_CYCLE_1)
	s_mul_i32 s3, s3, s8
	s_mul_hi_u32 s3, s8, s3
	s_delay_alu instid0(SALU_CYCLE_1) | instskip(NEXT) | instid1(SALU_CYCLE_1)
	s_add_co_i32 s8, s8, s3
	s_mul_hi_u32 s3, s21, s8
	s_delay_alu instid0(SALU_CYCLE_1) | instskip(SKIP_2) | instid1(SALU_CYCLE_1)
	s_mul_i32 s8, s3, s4
	s_add_co_i32 s9, s3, 1
	s_sub_co_i32 s8, s21, s8
	s_sub_co_i32 s10, s8, s4
	s_cmp_ge_u32 s8, s4
	s_cselect_b32 s3, s9, s3
	s_cselect_b32 s8, s10, s8
	s_add_co_i32 s9, s3, 1
	s_cmp_ge_u32 s8, s4
	s_cselect_b32 s27, s9, s3
	s_wait_kmcnt 0x0
	s_abs_i32 s3, s12
	s_abs_i32 s10, s16
	s_cvt_f32_u32 s8, s3
	s_sub_co_i32 s9, 0, s3
	s_delay_alu instid0(SALU_CYCLE_2) | instskip(SKIP_1) | instid1(TRANS32_DEP_1)
	v_rcp_iflag_f32_e32 v1, s8
	v_nop
	v_readfirstlane_b32 s8, v1
	s_mul_f32 s8, s8, 0x4f7ffffe
	s_delay_alu instid0(SALU_CYCLE_3) | instskip(NEXT) | instid1(SALU_CYCLE_3)
	s_cvt_u32_f32 s8, s8
	s_mul_i32 s9, s9, s8
	s_delay_alu instid0(SALU_CYCLE_1) | instskip(NEXT) | instid1(SALU_CYCLE_1)
	s_mul_hi_u32 s9, s8, s9
	s_add_co_i32 s8, s8, s9
	s_xor_b32 s9, s16, s12
	s_mul_hi_u32 s8, s10, s8
	s_ashr_i32 s9, s9, 31
	s_mul_i32 s11, s8, s3
	s_delay_alu instid0(SALU_CYCLE_1)
	s_sub_co_i32 s10, s10, s11
	s_add_co_i32 s11, s8, 1
	s_sub_co_i32 s12, s10, s3
	s_cmp_ge_u32 s10, s3
	s_cselect_b32 s8, s11, s8
	s_cselect_b32 s10, s12, s10
	s_add_co_i32 s11, s8, 1
	s_cmp_ge_u32 s10, s3
	s_cselect_b32 s3, s11, s8
	s_load_b32 s8, s[0:1], 0x68
	s_xor_b32 s3, s3, s9
	s_delay_alu instid0(SALU_CYCLE_1) | instskip(NEXT) | instid1(SALU_CYCLE_1)
	s_sub_co_i32 s23, s3, s9
	s_abs_i32 s22, s23
	s_delay_alu instid0(SALU_CYCLE_1) | instskip(NEXT) | instid1(SALU_CYCLE_3)
	s_cvt_f32_u32 s3, s22
	v_rcp_iflag_f32_e32 v1, s3
	s_mov_b32 s3, 0
	v_nop
	s_delay_alu instid0(TRANS32_DEP_1)
	v_readfirstlane_b32 s24, v1
	s_wait_kmcnt 0x0
	s_cmp_ge_i32 s27, s8
	s_cbranch_scc1 .LBB33_28
; %bb.1:
	s_load_b32 s37, s[0:1], 0x38
	s_add_nc_u64 s[28:29], s[0:1], 0x60
	s_load_b32 s25, s[0:1], 0xc4
	s_load_b128 s[8:11], s[28:29], 0x24
	v_mov_b64_e32 v[2:3], 0
	s_mul_i32 s6, s20, s6
	v_lshrrev_b32_e32 v1, 5, v0
	s_mul_i32 s5, s21, s5
	s_sub_co_i32 s12, s2, s6
	s_mul_i32 s2, s27, s4
	s_sub_co_i32 s16, s20, s5
	s_sub_co_i32 s33, s21, s2
	s_mov_b32 s38, exec_lo
	s_wait_kmcnt 0x0
	s_mul_i32 s37, s37, s17
	s_and_b32 s36, s25, 0xffff
	v_cmpx_gt_i32_e64 s37, v1
	s_cbranch_execz .LBB33_23
; %bb.2:
	s_mul_f32 s2, s24, 0x4f7ffffe
	s_ashr_i32 s6, s27, 31
	s_mov_b32 s39, 0
	s_delay_alu instid0(SALU_CYCLE_1) | instskip(SKIP_1) | instid1(SALU_CYCLE_2)
	s_cvt_u32_f32 s4, s2
	s_sub_co_i32 s2, 0, s22
	s_mul_i32 s5, s2, s4
	s_abs_i32 s2, s27
	s_mul_hi_u32 s20, s4, s5
	s_mov_b32 s5, s3
	s_add_co_i32 s4, s4, s20
	s_ashr_i32 s20, s23, 31
	s_mul_u64 s[4:5], s[2:3], s[4:5]
	s_lshr_b32 s3, s36, 5
	s_mul_i32 s4, s5, s22
	s_xor_b32 s42, s6, s20
	s_sub_co_i32 s2, s2, s4
	s_add_co_i32 s4, s5, 1
	s_sub_co_i32 s6, s2, s22
	s_cmp_ge_u32 s2, s22
	s_cselect_b32 s4, s4, s5
	s_cselect_b32 s2, s6, s2
	s_add_co_i32 s5, s4, 1
	s_cmp_ge_u32 s2, s22
	s_clause 0x1
	s_load_b128 s[20:23], s[0:1], 0x9c
	s_load_b64 s[40:41], s[0:1], 0xac
	s_cselect_b32 s43, s5, s4
	s_abs_i32 s44, s17
	s_abs_i32 s45, s19
	s_cvt_f32_u32 s2, s44
	s_cvt_f32_u32 s4, s45
	s_sub_co_i32 s5, 0, s44
	s_sub_co_i32 s6, 0, s45
	v_rcp_iflag_f32_e32 v2, s2
	v_rcp_iflag_f32_e32 v3, s4
	s_delay_alu instid0(TRANS32_DEP_2) | instskip(NEXT) | instid1(TRANS32_DEP_1)
	v_readfirstlane_b32 s2, v2
	v_readfirstlane_b32 s4, v3
	s_wait_kmcnt 0x0
	s_mul_i32 s23, s33, s23
	s_mul_f32 s2, s2, 0x4f7ffffe
	s_mul_f32 s4, s4, 0x4f7ffffe
	s_delay_alu instid0(SALU_CYCLE_2) | instskip(NEXT) | instid1(SALU_CYCLE_2)
	s_cvt_u32_f32 s2, s2
	s_cvt_u32_f32 s4, s4
	s_delay_alu instid0(SALU_CYCLE_2) | instskip(NEXT) | instid1(SALU_CYCLE_2)
	s_mul_i32 s5, s5, s2
	s_mul_i32 s6, s6, s4
	s_mul_hi_u32 s5, s2, s5
	s_delay_alu instid0(SALU_CYCLE_1) | instskip(SKIP_4) | instid1(VALU_DEP_2)
	s_add_co_i32 s2, s2, s5
	s_mul_hi_u32 s5, s4, s6
	v_mul_hi_u32 v2, v1, s2
	v_and_b32_e32 v4, 31, v0
	s_add_co_i32 s4, s4, s5
	v_add_nc_u32_e32 v7, 1, v2
	s_delay_alu instid0(VALU_DEP_2)
	v_mul_hi_u32 v3, v4, s4
	v_mul_lo_u32 v5, v2, s44
	s_clause 0x3
	s_load_b64 s[30:31], s[0:1], 0x0
	s_load_b96 s[4:6], s[0:1], 0x1c
	s_load_b64 s[34:35], s[0:1], 0x30
	s_load_b96 s[24:26], s[0:1], 0x4c
	s_wait_xcnt 0x0
	s_ashr_i32 s1, s17, 31
	s_delay_alu instid0(VALU_DEP_2) | instskip(NEXT) | instid1(VALU_DEP_1)
	v_mul_lo_u32 v6, v3, s45
	v_dual_sub_nc_u32 v5, v1, v5 :: v_dual_sub_nc_u32 v6, v4, v6
	s_delay_alu instid0(VALU_DEP_1)
	v_cmp_le_u32_e32 vcc_lo, s44, v5
	s_wait_kmcnt 0x0
	s_mul_i32 s0, s5, s27
	s_sub_co_i32 s5, s23, s20
	v_cmp_le_u32_e64 s2, s45, v6
	v_cndmask_b32_e32 v2, v2, v7, vcc_lo
	v_subrev_nc_u32_e32 v7, s44, v5
	v_add_nc_u32_e32 v8, 1, v3
	v_subrev_nc_u32_e32 v9, s45, v6
	s_delay_alu instid0(VALU_DEP_3) | instskip(NEXT) | instid1(VALU_DEP_2)
	v_dual_cndmask_b32 v5, v5, v7, vcc_lo :: v_dual_add_nc_u32 v7, 1, v2
	v_dual_cndmask_b32 v3, v3, v8, s2 :: v_dual_cndmask_b32 v6, v6, v9, s2
	s_ashr_i32 s2, s19, 31
	s_delay_alu instid0(VALU_DEP_2) | instskip(NEXT) | instid1(VALU_DEP_2)
	v_cmp_le_u32_e32 vcc_lo, s44, v5
	v_dual_mov_b32 v5, 0 :: v_dual_add_nc_u32 v8, 1, v3
	v_cndmask_b32_e32 v2, v2, v7, vcc_lo
	v_cmp_le_u32_e32 vcc_lo, s45, v6
	s_delay_alu instid0(VALU_DEP_3) | instskip(NEXT) | instid1(VALU_DEP_1)
	v_cndmask_b32_e32 v3, v3, v8, vcc_lo
	v_xor_b32_e32 v7, s2, v3
	s_delay_alu instid0(VALU_DEP_1) | instskip(SKIP_1) | instid1(SALU_CYCLE_1)
	v_subrev_nc_u32_e32 v17, s2, v7
	s_mul_i32 s2, s12, s41
	s_sub_co_i32 s20, s2, s22
	s_delay_alu instid0(VALU_DEP_1) | instskip(SKIP_3) | instid1(VALU_DEP_4)
	v_mul_lo_u32 v7, v17, s19
	v_xor_b32_e32 v6, s1, v2
	v_mov_b64_e32 v[2:3], 0
	v_cmp_gt_i32_e32 vcc_lo, s18, v17
	v_sub_nc_u32_e32 v19, v4, v7
	s_delay_alu instid0(VALU_DEP_4) | instskip(SKIP_1) | instid1(SALU_CYCLE_1)
	v_subrev_nc_u32_e32 v16, s1, v6
	s_xor_b32 s1, s43, s42
	s_sub_co_i32 s1, s1, s42
	s_delay_alu instid0(VALU_DEP_1)
	v_mul_lo_u32 v6, v16, s17
	s_mul_i32 s42, s25, s1
	s_ashr_i32 s1, s0, 31
	s_ashr_i32 s43, s42, 31
	s_lshl_b64 s[0:1], s[0:1], 3
	s_lshl_b64 s[42:43], s[42:43], 3
	s_add_nc_u64 s[30:31], s[30:31], s[0:1]
	s_mul_i32 s0, s16, s40
	s_add_nc_u64 s[34:35], s[34:35], s[42:43]
	s_sub_co_i32 s21, s0, s21
	s_delay_alu instid0(VALU_DEP_1)
	v_dual_sub_nc_u32 v18, v1, v6 :: v_dual_lshlrev_b32 v6, 3, v4
	s_branch .LBB33_6
.LBB33_3:                               ;   in Loop: Header=BB33_6 Depth=1
	s_or_b32 exec_lo, exec_lo, s25
.LBB33_4:                               ;   in Loop: Header=BB33_6 Depth=1
	s_delay_alu instid0(SALU_CYCLE_1)
	s_or_b32 exec_lo, exec_lo, s23
.LBB33_5:                               ;   in Loop: Header=BB33_6 Depth=1
	s_delay_alu instid0(SALU_CYCLE_1) | instskip(SKIP_1) | instid1(VALU_DEP_1)
	s_or_b32 exec_lo, exec_lo, s22
	v_dual_add_nc_u32 v1, s3, v1 :: v_dual_add_nc_u32 v18, s3, v18
	v_cmp_le_i32_e64 s0, s37, v1
	s_or_b32 s39, s0, s39
	s_delay_alu instid0(SALU_CYCLE_1)
	s_and_not1_b32 exec_lo, exec_lo, s39
	s_cbranch_execz .LBB33_22
.LBB33_6:                               ; =>This Loop Header: Depth=1
                                        ;     Child Loop BB33_8 Depth 2
                                        ;     Child Loop BB33_14 Depth 2
                                        ;       Child Loop BB33_20 Depth 3
	s_mov_b32 s1, exec_lo
	s_delay_alu instid0(VALU_DEP_1)
	v_cmpx_le_i32_e64 s17, v18
	s_cbranch_execz .LBB33_10
; %bb.7:                                ;   in Loop: Header=BB33_6 Depth=1
	s_mov_b32 s2, 0
.LBB33_8:                               ;   Parent Loop BB33_6 Depth=1
                                        ; =>  This Inner Loop Header: Depth=2
	v_subrev_nc_u32_e32 v18, s17, v18
	v_add_nc_u32_e32 v16, 1, v16
	s_delay_alu instid0(VALU_DEP_2) | instskip(SKIP_1) | instid1(SALU_CYCLE_1)
	v_cmp_gt_i32_e64 s0, s17, v18
	s_or_b32 s2, s0, s2
	s_and_not1_b32 exec_lo, exec_lo, s2
	s_cbranch_execnz .LBB33_8
; %bb.9:                                ;   in Loop: Header=BB33_6 Depth=1
	s_or_b32 exec_lo, exec_lo, s2
.LBB33_10:                              ;   in Loop: Header=BB33_6 Depth=1
	s_delay_alu instid0(SALU_CYCLE_1) | instskip(SKIP_1) | instid1(VALU_DEP_1)
	s_or_b32 exec_lo, exec_lo, s1
	v_mad_u32 v4, v18, s11, s5
	v_cmp_lt_i32_e64 s0, -1, v4
	v_cmp_gt_i32_e64 s1, s13, v4
	s_and_b32 s0, s0, s1
	s_delay_alu instid0(SALU_CYCLE_1)
	s_and_saveexec_b32 s22, s0
	s_cbranch_execz .LBB33_5
; %bb.11:                               ;   in Loop: Header=BB33_6 Depth=1
	s_and_saveexec_b32 s23, vcc_lo
	s_cbranch_execz .LBB33_4
; %bb.12:                               ;   in Loop: Header=BB33_6 Depth=1
	v_mul_lo_u32 v8, s4, v16
	v_mul_lo_u32 v10, s24, v16
	;; [unrolled: 1-line block ×4, first 2 shown]
	v_dual_mov_b32 v7, v5 :: v_dual_mov_b32 v20, v17
	s_mov_b32 s25, 0
	s_delay_alu instid0(VALU_DEP_4) | instskip(NEXT) | instid1(VALU_DEP_3)
	v_dual_ashrrev_i32 v9, 31, v8 :: v_dual_ashrrev_i32 v11, 31, v10
	v_dual_ashrrev_i32 v13, 31, v12 :: v_dual_ashrrev_i32 v15, 31, v14
	s_delay_alu instid0(VALU_DEP_2) | instskip(NEXT) | instid1(VALU_DEP_3)
	v_lshl_add_u64 v[8:9], v[8:9], 3, s[30:31]
	v_lshl_add_u64 v[10:11], v[10:11], 3, s[34:35]
	s_delay_alu instid0(VALU_DEP_2) | instskip(NEXT) | instid1(VALU_DEP_2)
	v_lshl_add_u64 v[12:13], v[12:13], 3, v[8:9]
	v_lshl_add_u64 v[8:9], v[14:15], 3, v[10:11]
	s_delay_alu instid0(VALU_DEP_2)
	v_add_nc_u64_e32 v[10:11], v[12:13], v[6:7]
	v_mov_b32_e32 v7, v19
	s_branch .LBB33_14
.LBB33_13:                              ;   in Loop: Header=BB33_14 Depth=2
	s_or_b32 exec_lo, exec_lo, s1
	s_wait_loadcnt 0x0
	v_fmac_f64_e32 v[2:3], v[12:13], v[14:15]
	v_cmp_le_i32_e64 s0, s18, v20
	v_add_nc_u64_e32 v[10:11], 0x100, v[10:11]
	s_or_b32 s25, s0, s25
	s_delay_alu instid0(SALU_CYCLE_1)
	s_and_not1_b32 exec_lo, exec_lo, s25
	s_cbranch_execz .LBB33_3
.LBB33_14:                              ;   Parent Loop BB33_6 Depth=1
                                        ; =>  This Loop Header: Depth=2
                                        ;       Child Loop BB33_20 Depth 3
	global_load_b64 v[12:13], v[10:11], off
	v_mov_b64_e32 v[14:15], 0
	v_lshl_add_u32 v4, v7, 1, s20
	s_mov_b32 s40, exec_lo
	s_wait_xcnt 0x0
	s_delay_alu instid0(VALU_DEP_1)
	v_cmpx_lt_i32_e32 -1, v4
	s_cbranch_execz .LBB33_18
; %bb.15:                               ;   in Loop: Header=BB33_14 Depth=2
	v_lshl_add_u32 v21, v20, 1, s21
	v_cmp_gt_i32_e64 s0, s15, v4
	v_mov_b64_e32 v[14:15], 0
	s_delay_alu instid0(VALU_DEP_3) | instskip(SKIP_2) | instid1(SALU_CYCLE_1)
	v_cmp_gt_i32_e64 s1, s14, v21
	v_cmp_lt_i32_e64 s2, -1, v21
	s_and_b32 s0, s0, s1
	s_and_b32 s1, s0, s2
	s_delay_alu instid0(SALU_CYCLE_1)
	s_and_saveexec_b32 s0, s1
	s_cbranch_execz .LBB33_17
; %bb.16:                               ;   in Loop: Header=BB33_14 Depth=2
	v_mad_u32 v4, v21, s15, v4
	s_delay_alu instid0(VALU_DEP_1)
	v_lshl_add_u64 v[14:15], v[4:5], 3, v[8:9]
	global_load_b64 v[14:15], v[14:15], off
.LBB33_17:                              ;   in Loop: Header=BB33_14 Depth=2
	s_wait_xcnt 0x0
	s_or_b32 exec_lo, exec_lo, s0
.LBB33_18:                              ;   in Loop: Header=BB33_14 Depth=2
	s_delay_alu instid0(SALU_CYCLE_1) | instskip(SKIP_2) | instid1(VALU_DEP_1)
	s_or_b32 exec_lo, exec_lo, s40
	v_add_nc_u32_e32 v7, 32, v7
	s_mov_b32 s1, exec_lo
	v_cmpx_le_i32_e64 s19, v7
	s_cbranch_execz .LBB33_13
; %bb.19:                               ;   in Loop: Header=BB33_14 Depth=2
	s_mov_b32 s2, 0
.LBB33_20:                              ;   Parent Loop BB33_6 Depth=1
                                        ;     Parent Loop BB33_14 Depth=2
                                        ; =>    This Inner Loop Header: Depth=3
	v_subrev_nc_u32_e32 v7, s19, v7
	v_add_nc_u32_e32 v20, 1, v20
	s_delay_alu instid0(VALU_DEP_2) | instskip(SKIP_1) | instid1(SALU_CYCLE_1)
	v_cmp_gt_i32_e64 s0, s19, v7
	s_or_b32 s2, s0, s2
	s_and_not1_b32 exec_lo, exec_lo, s2
	s_cbranch_execnz .LBB33_20
; %bb.21:                               ;   in Loop: Header=BB33_14 Depth=2
	s_or_b32 exec_lo, exec_lo, s2
	s_branch .LBB33_13
.LBB33_22:
	s_or_b32 exec_lo, exec_lo, s39
.LBB33_23:
	s_delay_alu instid0(SALU_CYCLE_1) | instskip(SKIP_3) | instid1(SALU_CYCLE_1)
	s_or_b32 exec_lo, exec_lo, s38
	s_load_b64 s[0:1], s[28:29], 0x0
	v_lshl_add_u32 v1, v0, 3, 0
	s_bcnt1_i32_b32 s2, s36
	s_cmp_lg_u32 s2, 1
	s_mov_b32 s2, -1
	ds_store_b64 v1, v[2:3]
	s_wait_dscnt 0x0
	s_barrier_signal -1
	s_barrier_wait -1
	s_cbranch_scc1 .LBB33_32
; %bb.24:
	s_and_not1_b32 vcc_lo, exec_lo, s2
	s_cbranch_vccnz .LBB33_28
.LBB33_25:
	s_cmp_lt_u32 s36, 2
	s_cbranch_scc0 .LBB33_30
.LBB33_26:
	s_mov_b32 s2, exec_lo
	v_cmpx_eq_u32_e32 0, v0
	s_cbranch_execz .LBB33_28
; %bb.27:
	s_mul_i32 s2, s7, s27
	s_mul_i32 s4, s8, s33
	s_ashr_i32 s3, s2, 31
	s_ashr_i32 s5, s4, 31
	s_lshl_b64 s[2:3], s[2:3], 3
	s_wait_kmcnt 0x0
	s_add_nc_u64 s[0:1], s[0:1], s[2:3]
	s_lshl_b64 s[2:3], s[4:5], 3
	s_mul_i32 s4, s10, s12
	s_delay_alu instid0(SALU_CYCLE_1) | instskip(SKIP_4) | instid1(SALU_CYCLE_1)
	v_dual_mov_b32 v0, 0 :: v_dual_mov_b32 v2, s4
	s_add_nc_u64 s[0:1], s[0:1], s[2:3]
	s_mul_i32 s2, s9, s16
	ds_load_b64 v[0:1], v0
	s_ashr_i32 s3, s2, 31
	s_lshl_b64 s[2:3], s[2:3], 3
	s_delay_alu instid0(SALU_CYCLE_1)
	s_add_nc_u64 s[0:1], s[0:1], s[2:3]
	s_wait_dscnt 0x0
	global_store_b64 v2, v[0:1], s[0:1] scale_offset
.LBB33_28:
	s_endpgm
.LBB33_29:                              ;   in Loop: Header=BB33_30 Depth=1
	s_or_b32 exec_lo, exec_lo, s3
	s_cmp_lt_u32 s36, 4
	s_mov_b32 s36, s2
	s_wait_dscnt 0x0
	s_barrier_signal -1
	s_barrier_wait -1
	s_cbranch_scc1 .LBB33_26
.LBB33_30:                              ; =>This Inner Loop Header: Depth=1
	s_lshr_b32 s2, s36, 1
	s_mov_b32 s3, exec_lo
	v_cmpx_gt_u32_e64 s2, v0
	s_cbranch_execz .LBB33_29
; %bb.31:                               ;   in Loop: Header=BB33_30 Depth=1
	v_lshl_add_u32 v2, s2, 3, v1
	ds_load_b64 v[2:3], v2
	ds_load_b64 v[4:5], v1
	s_wait_dscnt 0x0
	v_add_f64_e32 v[2:3], v[2:3], v[4:5]
	ds_store_b64 v1, v[2:3]
	s_branch .LBB33_29
.LBB33_32:
	s_trap 2
	; divergent unreachable
	s_cbranch_execz .LBB33_25
	s_branch .LBB33_28
	.section	.rodata,"a",@progbits
	.p2align	6, 0x0
	.amdhsa_kernel _ZN2at6native12_GLOBAL__N_144conv_depthwise3d_cuda_backward_weight_kernelIddLi2ELi2EEEvN5torch10headeronly6detail27GenericPackedTensorAccessorINS5_14TensorAccessorIN3c108ArrayRefIlEEKT_Lm4ENS4_16DefaultPtrTraitsEiEENS_6detail16IndexBoundsCheckILm5EiEESC_Lm5ESD_iEESI_NS6_INS7_ISA_SB_Lm4ESD_iEESH_SB_Lm5ESD_iEEiiiiiiiii
		.amdhsa_group_segment_fixed_size 0
		.amdhsa_private_segment_fixed_size 0
		.amdhsa_kernarg_size 440
		.amdhsa_user_sgpr_count 2
		.amdhsa_user_sgpr_dispatch_ptr 0
		.amdhsa_user_sgpr_queue_ptr 0
		.amdhsa_user_sgpr_kernarg_segment_ptr 1
		.amdhsa_user_sgpr_dispatch_id 0
		.amdhsa_user_sgpr_kernarg_preload_length 0
		.amdhsa_user_sgpr_kernarg_preload_offset 0
		.amdhsa_user_sgpr_private_segment_size 0
		.amdhsa_wavefront_size32 1
		.amdhsa_uses_dynamic_stack 0
		.amdhsa_enable_private_segment 0
		.amdhsa_system_sgpr_workgroup_id_x 1
		.amdhsa_system_sgpr_workgroup_id_y 0
		.amdhsa_system_sgpr_workgroup_id_z 0
		.amdhsa_system_sgpr_workgroup_info 0
		.amdhsa_system_vgpr_workitem_id 0
		.amdhsa_next_free_vgpr 22
		.amdhsa_next_free_sgpr 46
		.amdhsa_named_barrier_count 0
		.amdhsa_reserve_vcc 1
		.amdhsa_float_round_mode_32 0
		.amdhsa_float_round_mode_16_64 0
		.amdhsa_float_denorm_mode_32 3
		.amdhsa_float_denorm_mode_16_64 3
		.amdhsa_fp16_overflow 0
		.amdhsa_memory_ordered 1
		.amdhsa_forward_progress 1
		.amdhsa_inst_pref_size 17
		.amdhsa_round_robin_scheduling 0
		.amdhsa_exception_fp_ieee_invalid_op 0
		.amdhsa_exception_fp_denorm_src 0
		.amdhsa_exception_fp_ieee_div_zero 0
		.amdhsa_exception_fp_ieee_overflow 0
		.amdhsa_exception_fp_ieee_underflow 0
		.amdhsa_exception_fp_ieee_inexact 0
		.amdhsa_exception_int_div_zero 0
	.end_amdhsa_kernel
	.section	.text._ZN2at6native12_GLOBAL__N_144conv_depthwise3d_cuda_backward_weight_kernelIddLi2ELi2EEEvN5torch10headeronly6detail27GenericPackedTensorAccessorINS5_14TensorAccessorIN3c108ArrayRefIlEEKT_Lm4ENS4_16DefaultPtrTraitsEiEENS_6detail16IndexBoundsCheckILm5EiEESC_Lm5ESD_iEESI_NS6_INS7_ISA_SB_Lm4ESD_iEESH_SB_Lm5ESD_iEEiiiiiiiii,"axG",@progbits,_ZN2at6native12_GLOBAL__N_144conv_depthwise3d_cuda_backward_weight_kernelIddLi2ELi2EEEvN5torch10headeronly6detail27GenericPackedTensorAccessorINS5_14TensorAccessorIN3c108ArrayRefIlEEKT_Lm4ENS4_16DefaultPtrTraitsEiEENS_6detail16IndexBoundsCheckILm5EiEESC_Lm5ESD_iEESI_NS6_INS7_ISA_SB_Lm4ESD_iEESH_SB_Lm5ESD_iEEiiiiiiiii,comdat
.Lfunc_end33:
	.size	_ZN2at6native12_GLOBAL__N_144conv_depthwise3d_cuda_backward_weight_kernelIddLi2ELi2EEEvN5torch10headeronly6detail27GenericPackedTensorAccessorINS5_14TensorAccessorIN3c108ArrayRefIlEEKT_Lm4ENS4_16DefaultPtrTraitsEiEENS_6detail16IndexBoundsCheckILm5EiEESC_Lm5ESD_iEESI_NS6_INS7_ISA_SB_Lm4ESD_iEESH_SB_Lm5ESD_iEEiiiiiiiii, .Lfunc_end33-_ZN2at6native12_GLOBAL__N_144conv_depthwise3d_cuda_backward_weight_kernelIddLi2ELi2EEEvN5torch10headeronly6detail27GenericPackedTensorAccessorINS5_14TensorAccessorIN3c108ArrayRefIlEEKT_Lm4ENS4_16DefaultPtrTraitsEiEENS_6detail16IndexBoundsCheckILm5EiEESC_Lm5ESD_iEESI_NS6_INS7_ISA_SB_Lm4ESD_iEESH_SB_Lm5ESD_iEEiiiiiiiii
                                        ; -- End function
	.set _ZN2at6native12_GLOBAL__N_144conv_depthwise3d_cuda_backward_weight_kernelIddLi2ELi2EEEvN5torch10headeronly6detail27GenericPackedTensorAccessorINS5_14TensorAccessorIN3c108ArrayRefIlEEKT_Lm4ENS4_16DefaultPtrTraitsEiEENS_6detail16IndexBoundsCheckILm5EiEESC_Lm5ESD_iEESI_NS6_INS7_ISA_SB_Lm4ESD_iEESH_SB_Lm5ESD_iEEiiiiiiiii.num_vgpr, 22
	.set _ZN2at6native12_GLOBAL__N_144conv_depthwise3d_cuda_backward_weight_kernelIddLi2ELi2EEEvN5torch10headeronly6detail27GenericPackedTensorAccessorINS5_14TensorAccessorIN3c108ArrayRefIlEEKT_Lm4ENS4_16DefaultPtrTraitsEiEENS_6detail16IndexBoundsCheckILm5EiEESC_Lm5ESD_iEESI_NS6_INS7_ISA_SB_Lm4ESD_iEESH_SB_Lm5ESD_iEEiiiiiiiii.num_agpr, 0
	.set _ZN2at6native12_GLOBAL__N_144conv_depthwise3d_cuda_backward_weight_kernelIddLi2ELi2EEEvN5torch10headeronly6detail27GenericPackedTensorAccessorINS5_14TensorAccessorIN3c108ArrayRefIlEEKT_Lm4ENS4_16DefaultPtrTraitsEiEENS_6detail16IndexBoundsCheckILm5EiEESC_Lm5ESD_iEESI_NS6_INS7_ISA_SB_Lm4ESD_iEESH_SB_Lm5ESD_iEEiiiiiiiii.numbered_sgpr, 46
	.set _ZN2at6native12_GLOBAL__N_144conv_depthwise3d_cuda_backward_weight_kernelIddLi2ELi2EEEvN5torch10headeronly6detail27GenericPackedTensorAccessorINS5_14TensorAccessorIN3c108ArrayRefIlEEKT_Lm4ENS4_16DefaultPtrTraitsEiEENS_6detail16IndexBoundsCheckILm5EiEESC_Lm5ESD_iEESI_NS6_INS7_ISA_SB_Lm4ESD_iEESH_SB_Lm5ESD_iEEiiiiiiiii.num_named_barrier, 0
	.set _ZN2at6native12_GLOBAL__N_144conv_depthwise3d_cuda_backward_weight_kernelIddLi2ELi2EEEvN5torch10headeronly6detail27GenericPackedTensorAccessorINS5_14TensorAccessorIN3c108ArrayRefIlEEKT_Lm4ENS4_16DefaultPtrTraitsEiEENS_6detail16IndexBoundsCheckILm5EiEESC_Lm5ESD_iEESI_NS6_INS7_ISA_SB_Lm4ESD_iEESH_SB_Lm5ESD_iEEiiiiiiiii.private_seg_size, 0
	.set _ZN2at6native12_GLOBAL__N_144conv_depthwise3d_cuda_backward_weight_kernelIddLi2ELi2EEEvN5torch10headeronly6detail27GenericPackedTensorAccessorINS5_14TensorAccessorIN3c108ArrayRefIlEEKT_Lm4ENS4_16DefaultPtrTraitsEiEENS_6detail16IndexBoundsCheckILm5EiEESC_Lm5ESD_iEESI_NS6_INS7_ISA_SB_Lm4ESD_iEESH_SB_Lm5ESD_iEEiiiiiiiii.uses_vcc, 1
	.set _ZN2at6native12_GLOBAL__N_144conv_depthwise3d_cuda_backward_weight_kernelIddLi2ELi2EEEvN5torch10headeronly6detail27GenericPackedTensorAccessorINS5_14TensorAccessorIN3c108ArrayRefIlEEKT_Lm4ENS4_16DefaultPtrTraitsEiEENS_6detail16IndexBoundsCheckILm5EiEESC_Lm5ESD_iEESI_NS6_INS7_ISA_SB_Lm4ESD_iEESH_SB_Lm5ESD_iEEiiiiiiiii.uses_flat_scratch, 0
	.set _ZN2at6native12_GLOBAL__N_144conv_depthwise3d_cuda_backward_weight_kernelIddLi2ELi2EEEvN5torch10headeronly6detail27GenericPackedTensorAccessorINS5_14TensorAccessorIN3c108ArrayRefIlEEKT_Lm4ENS4_16DefaultPtrTraitsEiEENS_6detail16IndexBoundsCheckILm5EiEESC_Lm5ESD_iEESI_NS6_INS7_ISA_SB_Lm4ESD_iEESH_SB_Lm5ESD_iEEiiiiiiiii.has_dyn_sized_stack, 0
	.set _ZN2at6native12_GLOBAL__N_144conv_depthwise3d_cuda_backward_weight_kernelIddLi2ELi2EEEvN5torch10headeronly6detail27GenericPackedTensorAccessorINS5_14TensorAccessorIN3c108ArrayRefIlEEKT_Lm4ENS4_16DefaultPtrTraitsEiEENS_6detail16IndexBoundsCheckILm5EiEESC_Lm5ESD_iEESI_NS6_INS7_ISA_SB_Lm4ESD_iEESH_SB_Lm5ESD_iEEiiiiiiiii.has_recursion, 0
	.set _ZN2at6native12_GLOBAL__N_144conv_depthwise3d_cuda_backward_weight_kernelIddLi2ELi2EEEvN5torch10headeronly6detail27GenericPackedTensorAccessorINS5_14TensorAccessorIN3c108ArrayRefIlEEKT_Lm4ENS4_16DefaultPtrTraitsEiEENS_6detail16IndexBoundsCheckILm5EiEESC_Lm5ESD_iEESI_NS6_INS7_ISA_SB_Lm4ESD_iEESH_SB_Lm5ESD_iEEiiiiiiiii.has_indirect_call, 0
	.section	.AMDGPU.csdata,"",@progbits
; Kernel info:
; codeLenInByte = 2096
; TotalNumSgprs: 48
; NumVgprs: 22
; ScratchSize: 0
; MemoryBound: 0
; FloatMode: 240
; IeeeMode: 1
; LDSByteSize: 0 bytes/workgroup (compile time only)
; SGPRBlocks: 0
; VGPRBlocks: 1
; NumSGPRsForWavesPerEU: 48
; NumVGPRsForWavesPerEU: 22
; NamedBarCnt: 0
; Occupancy: 16
; WaveLimiterHint : 1
; COMPUTE_PGM_RSRC2:SCRATCH_EN: 0
; COMPUTE_PGM_RSRC2:USER_SGPR: 2
; COMPUTE_PGM_RSRC2:TRAP_HANDLER: 0
; COMPUTE_PGM_RSRC2:TGID_X_EN: 1
; COMPUTE_PGM_RSRC2:TGID_Y_EN: 0
; COMPUTE_PGM_RSRC2:TGID_Z_EN: 0
; COMPUTE_PGM_RSRC2:TIDIG_COMP_CNT: 0
	.section	.text._ZN2at6native12_GLOBAL__N_144conv_depthwise3d_cuda_backward_weight_kernelIddLin1ELin1EEEvN5torch10headeronly6detail27GenericPackedTensorAccessorINS5_14TensorAccessorIN3c108ArrayRefIlEEKT_Lm4ENS4_16DefaultPtrTraitsEiEENS_6detail16IndexBoundsCheckILm5EiEESC_Lm5ESD_iEESI_NS6_INS7_ISA_SB_Lm4ESD_iEESH_SB_Lm5ESD_iEEiiiiiiiii,"axG",@progbits,_ZN2at6native12_GLOBAL__N_144conv_depthwise3d_cuda_backward_weight_kernelIddLin1ELin1EEEvN5torch10headeronly6detail27GenericPackedTensorAccessorINS5_14TensorAccessorIN3c108ArrayRefIlEEKT_Lm4ENS4_16DefaultPtrTraitsEiEENS_6detail16IndexBoundsCheckILm5EiEESC_Lm5ESD_iEESI_NS6_INS7_ISA_SB_Lm4ESD_iEESH_SB_Lm5ESD_iEEiiiiiiiii,comdat
	.globl	_ZN2at6native12_GLOBAL__N_144conv_depthwise3d_cuda_backward_weight_kernelIddLin1ELin1EEEvN5torch10headeronly6detail27GenericPackedTensorAccessorINS5_14TensorAccessorIN3c108ArrayRefIlEEKT_Lm4ENS4_16DefaultPtrTraitsEiEENS_6detail16IndexBoundsCheckILm5EiEESC_Lm5ESD_iEESI_NS6_INS7_ISA_SB_Lm4ESD_iEESH_SB_Lm5ESD_iEEiiiiiiiii ; -- Begin function _ZN2at6native12_GLOBAL__N_144conv_depthwise3d_cuda_backward_weight_kernelIddLin1ELin1EEEvN5torch10headeronly6detail27GenericPackedTensorAccessorINS5_14TensorAccessorIN3c108ArrayRefIlEEKT_Lm4ENS4_16DefaultPtrTraitsEiEENS_6detail16IndexBoundsCheckILm5EiEESC_Lm5ESD_iEESI_NS6_INS7_ISA_SB_Lm4ESD_iEESH_SB_Lm5ESD_iEEiiiiiiiii
	.p2align	8
	.type	_ZN2at6native12_GLOBAL__N_144conv_depthwise3d_cuda_backward_weight_kernelIddLin1ELin1EEEvN5torch10headeronly6detail27GenericPackedTensorAccessorINS5_14TensorAccessorIN3c108ArrayRefIlEEKT_Lm4ENS4_16DefaultPtrTraitsEiEENS_6detail16IndexBoundsCheckILm5EiEESC_Lm5ESD_iEESI_NS6_INS7_ISA_SB_Lm4ESD_iEESH_SB_Lm5ESD_iEEiiiiiiiii,@function
_ZN2at6native12_GLOBAL__N_144conv_depthwise3d_cuda_backward_weight_kernelIddLin1ELin1EEEvN5torch10headeronly6detail27GenericPackedTensorAccessorINS5_14TensorAccessorIN3c108ArrayRefIlEEKT_Lm4ENS4_16DefaultPtrTraitsEiEENS_6detail16IndexBoundsCheckILm5EiEESC_Lm5ESD_iEESI_NS6_INS7_ISA_SB_Lm4ESD_iEESH_SB_Lm5ESD_iEEiiiiiiiii: ; @_ZN2at6native12_GLOBAL__N_144conv_depthwise3d_cuda_backward_weight_kernelIddLin1ELin1EEEvN5torch10headeronly6detail27GenericPackedTensorAccessorINS5_14TensorAccessorIN3c108ArrayRefIlEEKT_Lm4ENS4_16DefaultPtrTraitsEiEENS_6detail16IndexBoundsCheckILm5EiEESC_Lm5ESD_iEESI_NS6_INS7_ISA_SB_Lm4ESD_iEESH_SB_Lm5ESD_iEEiiiiiiiii
; %bb.0:
	s_load_b128 s[12:15], s[0:1], 0x70
	s_and_b32 s4, ttmp6, 15
	s_getreg_b32 s5, hwreg(HW_REG_IB_STS2, 6, 4)
	s_clause 0x1
	s_load_b128 s[16:19], s[0:1], 0x3c
	s_load_b128 s[20:23], s[0:1], 0xc
	s_wait_kmcnt 0x0
	s_cvt_f32_u32 s2, s14
	s_delay_alu instid0(SALU_CYCLE_3) | instskip(SKIP_1) | instid1(SALU_CYCLE_1)
	v_rcp_iflag_f32_e32 v1, s2
	s_bfe_u32 s2, ttmp6, 0x4000c
	s_add_co_i32 s2, s2, 1
	s_delay_alu instid0(SALU_CYCLE_1) | instskip(NEXT) | instid1(SALU_CYCLE_1)
	s_mul_i32 s2, ttmp9, s2
	s_add_co_i32 s4, s4, s2
	v_nop
	s_delay_alu instid0(TRANS32_DEP_1)
	v_readfirstlane_b32 s3, v1
	s_cmp_eq_u32 s5, 0
	s_cselect_b32 s2, ttmp9, s4
	s_cvt_f32_u32 s4, s13
	s_mul_f32 s3, s3, 0x4f7ffffe
	s_sub_co_i32 s5, 0, s14
	s_delay_alu instid0(SALU_CYCLE_1) | instskip(NEXT) | instid1(SALU_CYCLE_1)
	v_rcp_iflag_f32_e32 v1, s4
	s_cvt_u32_f32 s3, s3
	s_delay_alu instid0(SALU_CYCLE_3) | instskip(NEXT) | instid1(SALU_CYCLE_1)
	s_mul_i32 s5, s5, s3
	s_mul_hi_u32 s4, s3, s5
	v_nop
	s_delay_alu instid0(TRANS32_DEP_1) | instskip(SKIP_3) | instid1(SALU_CYCLE_1)
	v_readfirstlane_b32 s6, v1
	s_add_co_i32 s3, s3, s4
	s_cvt_f32_u32 s4, s12
	s_mul_hi_u32 s3, s2, s3
	s_mul_i32 s5, s3, s14
	s_add_co_i32 s7, s3, 1
	s_sub_co_i32 s5, s2, s5
	s_mul_f32 s6, s6, 0x4f7ffffe
	s_sub_co_i32 s8, s5, s14
	s_cmp_ge_u32 s5, s14
	v_rcp_iflag_f32_e32 v1, s4
	s_cselect_b32 s3, s7, s3
	s_cselect_b32 s5, s8, s5
	s_add_co_i32 s7, s3, 1
	s_cmp_ge_u32 s5, s14
	s_cvt_u32_f32 s5, s6
	s_cselect_b32 s28, s7, s3
	s_sub_co_i32 s3, 0, s13
	s_delay_alu instid0(SALU_CYCLE_1) | instskip(NEXT) | instid1(SALU_CYCLE_1)
	s_mul_i32 s3, s3, s5
	s_mul_hi_u32 s3, s5, s3
	s_delay_alu instid0(SALU_CYCLE_1) | instskip(NEXT) | instid1(SALU_CYCLE_1)
	s_add_co_i32 s5, s5, s3
	s_mul_hi_u32 s3, s28, s5
	v_nop
	v_readfirstlane_b32 s5, v1
	s_mul_i32 s4, s3, s13
	s_add_co_i32 s6, s3, 1
	s_sub_co_i32 s4, s28, s4
	s_delay_alu instid0(SALU_CYCLE_1)
	s_sub_co_i32 s7, s4, s13
	s_cmp_ge_u32 s4, s13
	s_mul_f32 s5, s5, 0x4f7ffffe
	s_cselect_b32 s3, s6, s3
	s_cselect_b32 s4, s7, s4
	s_add_co_i32 s6, s3, 1
	s_cmp_ge_u32 s4, s13
	s_cvt_u32_f32 s4, s5
	s_cselect_b32 s29, s6, s3
	s_sub_co_i32 s3, 0, s12
	s_delay_alu instid0(SALU_CYCLE_1) | instskip(NEXT) | instid1(SALU_CYCLE_1)
	s_mul_i32 s3, s3, s4
	s_mul_hi_u32 s3, s4, s3
	s_delay_alu instid0(SALU_CYCLE_1) | instskip(NEXT) | instid1(SALU_CYCLE_1)
	s_add_co_i32 s4, s4, s3
	s_mul_hi_u32 s3, s29, s4
	s_delay_alu instid0(SALU_CYCLE_1) | instskip(SKIP_2) | instid1(SALU_CYCLE_1)
	s_mul_i32 s4, s3, s12
	s_add_co_i32 s5, s3, 1
	s_sub_co_i32 s4, s29, s4
	s_sub_co_i32 s6, s4, s12
	s_cmp_ge_u32 s4, s12
	s_cselect_b32 s3, s5, s3
	s_cselect_b32 s4, s6, s4
	s_add_co_i32 s5, s3, 1
	s_cmp_ge_u32 s4, s12
	s_cselect_b32 s31, s5, s3
	s_abs_i32 s3, s16
	s_abs_i32 s6, s20
	s_cvt_f32_u32 s4, s3
	s_sub_co_i32 s5, 0, s3
	s_delay_alu instid0(SALU_CYCLE_2) | instskip(SKIP_1) | instid1(TRANS32_DEP_1)
	v_rcp_iflag_f32_e32 v1, s4
	v_nop
	v_readfirstlane_b32 s4, v1
	s_mul_f32 s4, s4, 0x4f7ffffe
	s_delay_alu instid0(SALU_CYCLE_3) | instskip(NEXT) | instid1(SALU_CYCLE_3)
	s_cvt_u32_f32 s4, s4
	s_mul_i32 s5, s5, s4
	s_delay_alu instid0(SALU_CYCLE_1) | instskip(NEXT) | instid1(SALU_CYCLE_1)
	s_mul_hi_u32 s5, s4, s5
	s_add_co_i32 s4, s4, s5
	s_xor_b32 s5, s20, s16
	s_mul_hi_u32 s4, s6, s4
	s_ashr_i32 s5, s5, 31
	s_mul_i32 s7, s4, s3
	s_delay_alu instid0(SALU_CYCLE_1)
	s_sub_co_i32 s6, s6, s7
	s_add_co_i32 s7, s4, 1
	s_sub_co_i32 s8, s6, s3
	s_cmp_ge_u32 s6, s3
	s_cselect_b32 s4, s7, s4
	s_cselect_b32 s6, s8, s6
	s_add_co_i32 s7, s4, 1
	s_cmp_ge_u32 s6, s3
	s_cselect_b32 s3, s7, s4
	s_load_b32 s4, s[0:1], 0x68
	s_xor_b32 s3, s3, s5
	s_delay_alu instid0(SALU_CYCLE_1) | instskip(NEXT) | instid1(SALU_CYCLE_1)
	s_sub_co_i32 s36, s3, s5
	s_abs_i32 s30, s36
	s_delay_alu instid0(SALU_CYCLE_1) | instskip(NEXT) | instid1(SALU_CYCLE_3)
	s_cvt_f32_u32 s3, s30
	v_rcp_iflag_f32_e32 v1, s3
	s_mov_b32 s3, 0
	v_nop
	s_delay_alu instid0(TRANS32_DEP_1)
	v_readfirstlane_b32 s37, v1
	s_wait_kmcnt 0x0
	s_cmp_ge_i32 s31, s4
	s_cbranch_scc1 .LBB34_28
; %bb.1:
	s_load_b32 s41, s[0:1], 0x38
	s_add_nc_u64 s[34:35], s[0:1], 0x60
	s_load_b32 s38, s[0:1], 0xc4
	s_clause 0x1
	s_load_b128 s[24:27], s[34:35], 0x44
	s_load_b256 s[4:11], s[34:35], 0x24
	v_mov_b64_e32 v[2:3], 0
	s_mul_i32 s14, s28, s14
	v_lshrrev_b32_e32 v1, 5, v0
	s_mul_i32 s13, s29, s13
	s_sub_co_i32 s16, s2, s14
	s_mul_i32 s2, s31, s12
	s_sub_co_i32 s20, s28, s13
	s_sub_co_i32 s33, s29, s2
	s_mov_b32 s42, exec_lo
	s_wait_kmcnt 0x0
	s_and_b32 s40, s38, 0xffff
	s_mul_i32 s41, s41, s21
	s_delay_alu instid0(SALU_CYCLE_1)
	v_cmpx_gt_i32_e64 s41, v1
	s_cbranch_execz .LBB34_23
; %bb.2:
	s_mul_f32 s2, s37, 0x4f7ffffe
	s_ashr_i32 s14, s31, 31
	s_mov_b32 s43, 0
	s_delay_alu instid0(SALU_CYCLE_1) | instskip(SKIP_1) | instid1(SALU_CYCLE_2)
	s_cvt_u32_f32 s12, s2
	s_sub_co_i32 s2, 0, s30
	s_mul_i32 s13, s2, s12
	s_abs_i32 s2, s31
	s_mul_hi_u32 s28, s12, s13
	s_mov_b32 s13, s3
	s_add_co_i32 s12, s12, s28
	s_ashr_i32 s28, s36, 31
	s_mul_u64 s[12:13], s[2:3], s[12:13]
	s_lshr_b32 s3, s40, 5
	s_mul_i32 s12, s13, s30
	s_xor_b32 s44, s14, s28
	s_sub_co_i32 s2, s2, s12
	s_add_co_i32 s12, s13, 1
	s_sub_co_i32 s14, s2, s30
	s_cmp_ge_u32 s2, s30
	s_cselect_b32 s12, s12, s13
	s_cselect_b32 s2, s14, s2
	s_add_co_i32 s13, s12, 1
	s_cmp_ge_u32 s2, s30
	s_cselect_b32 s45, s13, s12
	s_abs_i32 s46, s21
	s_abs_i32 s47, s23
	s_cvt_f32_u32 s2, s46
	s_cvt_f32_u32 s12, s47
	s_sub_co_i32 s13, 0, s46
	s_sub_co_i32 s14, 0, s47
	v_rcp_iflag_f32_e32 v2, s2
	v_rcp_iflag_f32_e32 v3, s12
	s_delay_alu instid0(TRANS32_DEP_2) | instskip(NEXT) | instid1(TRANS32_DEP_1)
	v_readfirstlane_b32 s2, v2
	v_readfirstlane_b32 s12, v3
	s_mul_f32 s2, s2, 0x4f7ffffe
	s_mul_f32 s12, s12, 0x4f7ffffe
	s_delay_alu instid0(SALU_CYCLE_2) | instskip(NEXT) | instid1(SALU_CYCLE_2)
	s_cvt_u32_f32 s2, s2
	s_cvt_u32_f32 s12, s12
	s_delay_alu instid0(SALU_CYCLE_2) | instskip(NEXT) | instid1(SALU_CYCLE_2)
	s_mul_i32 s13, s13, s2
	s_mul_i32 s14, s14, s12
	s_mul_hi_u32 s13, s2, s13
	s_delay_alu instid0(SALU_CYCLE_1) | instskip(SKIP_3) | instid1(VALU_DEP_1)
	s_add_co_i32 s2, s2, s13
	s_mul_hi_u32 s13, s12, s14
	v_mul_hi_u32 v2, v1, s2
	s_add_co_i32 s12, s12, s13
	v_mul_lo_u32 v5, v2, s46
	s_delay_alu instid0(VALU_DEP_1) | instskip(NEXT) | instid1(VALU_DEP_1)
	v_dual_sub_nc_u32 v5, v1, v5 :: v_dual_bitop2_b32 v4, 31, v0 bitop3:0x40
	v_mul_hi_u32 v3, v4, s12
	v_add_nc_u32_e32 v7, 1, v2
	s_clause 0x3
	s_load_b64 s[36:37], s[0:1], 0x0
	s_load_b96 s[12:14], s[0:1], 0x1c
	s_load_b64 s[38:39], s[0:1], 0x30
	s_load_b96 s[28:30], s[0:1], 0x4c
	v_cmp_le_u32_e32 vcc_lo, s46, v5
	s_wait_xcnt 0x0
	s_ashr_i32 s0, s21, 31
	s_mul_i32 s1, s33, s25
	s_mul_i32 s25, s16, s27
	s_sub_co_i32 s10, s1, s10
	v_mul_lo_u32 v6, v3, s47
	v_add_nc_u32_e32 v8, 1, v3
	v_cndmask_b32_e32 v2, v2, v7, vcc_lo
	v_subrev_nc_u32_e32 v7, s46, v5
	s_delay_alu instid0(VALU_DEP_1) | instskip(NEXT) | instid1(VALU_DEP_1)
	v_dual_cndmask_b32 v5, v5, v7 :: v_dual_sub_nc_u32 v6, v4, v6
	v_cmp_le_u32_e32 vcc_lo, s46, v5
	v_mov_b32_e32 v5, 0
	s_delay_alu instid0(VALU_DEP_3) | instskip(NEXT) | instid1(VALU_DEP_1)
	v_cmp_le_u32_e64 s2, s47, v6
	v_cndmask_b32_e64 v3, v3, v8, s2
	v_subrev_nc_u32_e32 v8, s47, v6
	s_delay_alu instid0(VALU_DEP_1) | instskip(NEXT) | instid1(VALU_DEP_1)
	v_dual_add_nc_u32 v7, 1, v2 :: v_dual_cndmask_b32 v6, v6, v8, s2
	v_cndmask_b32_e32 v2, v2, v7, vcc_lo
	s_delay_alu instid0(VALU_DEP_4) | instskip(SKIP_1) | instid1(VALU_DEP_3)
	v_add_nc_u32_e32 v8, 1, v3
	s_ashr_i32 s2, s23, 31
	v_cmp_le_u32_e32 vcc_lo, s47, v6
	s_delay_alu instid0(VALU_DEP_2) | instskip(NEXT) | instid1(VALU_DEP_1)
	v_dual_cndmask_b32 v3, v3, v8, vcc_lo :: v_dual_bitop2_b32 v6, s0, v2 bitop3:0x14
	v_subrev_nc_u32_e32 v16, s0, v6
	s_wait_kmcnt 0x0
	s_mul_i32 s0, s13, s31
	s_sub_co_i32 s13, s25, s24
	s_ashr_i32 s1, s0, 31
	v_xor_b32_e32 v7, s2, v3
	v_mov_b64_e32 v[2:3], 0
	v_mul_lo_u32 v6, v16, s21
	s_lshl_b64 s[0:1], s[0:1], 3
	s_delay_alu instid0(VALU_DEP_3)
	v_subrev_nc_u32_e32 v17, s2, v7
	s_xor_b32 s2, s45, s44
	s_add_nc_u64 s[36:37], s[36:37], s[0:1]
	s_sub_co_i32 s2, s2, s44
	s_mul_i32 s0, s20, s26
	v_mul_lo_u32 v7, v17, s23
	s_mul_i32 s44, s29, s2
	s_sub_co_i32 s11, s0, s11
	s_ashr_i32 s45, s44, 31
	v_dual_sub_nc_u32 v18, v1, v6 :: v_dual_lshlrev_b32 v6, 3, v4
	s_lshl_b64 s[44:45], s[44:45], 3
	v_cmp_gt_i32_e32 vcc_lo, s22, v17
	s_add_nc_u64 s[38:39], s[38:39], s[44:45]
	s_delay_alu instid0(VALU_DEP_3)
	v_sub_nc_u32_e32 v19, v4, v7
	s_branch .LBB34_6
.LBB34_3:                               ;   in Loop: Header=BB34_6 Depth=1
	s_or_b32 exec_lo, exec_lo, s26
.LBB34_4:                               ;   in Loop: Header=BB34_6 Depth=1
	s_delay_alu instid0(SALU_CYCLE_1)
	s_or_b32 exec_lo, exec_lo, s25
.LBB34_5:                               ;   in Loop: Header=BB34_6 Depth=1
	s_delay_alu instid0(SALU_CYCLE_1) | instskip(SKIP_1) | instid1(VALU_DEP_1)
	s_or_b32 exec_lo, exec_lo, s24
	v_dual_add_nc_u32 v1, s3, v1 :: v_dual_add_nc_u32 v18, s3, v18
	v_cmp_le_i32_e64 s0, s41, v1
	s_or_b32 s43, s0, s43
	s_delay_alu instid0(SALU_CYCLE_1)
	s_and_not1_b32 exec_lo, exec_lo, s43
	s_cbranch_execz .LBB34_22
.LBB34_6:                               ; =>This Loop Header: Depth=1
                                        ;     Child Loop BB34_8 Depth 2
                                        ;     Child Loop BB34_14 Depth 2
                                        ;       Child Loop BB34_20 Depth 3
	s_mov_b32 s1, exec_lo
	v_cmpx_le_i32_e64 s21, v18
	s_cbranch_execz .LBB34_10
; %bb.7:                                ;   in Loop: Header=BB34_6 Depth=1
	s_mov_b32 s2, 0
.LBB34_8:                               ;   Parent Loop BB34_6 Depth=1
                                        ; =>  This Inner Loop Header: Depth=2
	v_subrev_nc_u32_e32 v18, s21, v18
	v_add_nc_u32_e32 v16, 1, v16
	s_delay_alu instid0(VALU_DEP_2) | instskip(SKIP_1) | instid1(SALU_CYCLE_1)
	v_cmp_gt_i32_e64 s0, s21, v18
	s_or_b32 s2, s0, s2
	s_and_not1_b32 exec_lo, exec_lo, s2
	s_cbranch_execnz .LBB34_8
; %bb.9:                                ;   in Loop: Header=BB34_6 Depth=1
	s_or_b32 exec_lo, exec_lo, s2
.LBB34_10:                              ;   in Loop: Header=BB34_6 Depth=1
	s_delay_alu instid0(SALU_CYCLE_1) | instskip(SKIP_1) | instid1(VALU_DEP_1)
	s_or_b32 exec_lo, exec_lo, s1
	v_mad_u32 v4, v18, s7, s10
	v_cmp_lt_i32_e64 s0, -1, v4
	v_cmp_gt_i32_e64 s1, s17, v4
	s_and_b32 s0, s0, s1
	s_delay_alu instid0(SALU_CYCLE_1)
	s_and_saveexec_b32 s24, s0
	s_cbranch_execz .LBB34_5
; %bb.11:                               ;   in Loop: Header=BB34_6 Depth=1
	s_and_saveexec_b32 s25, vcc_lo
	s_cbranch_execz .LBB34_4
; %bb.12:                               ;   in Loop: Header=BB34_6 Depth=1
	v_mul_lo_u32 v8, s12, v16
	v_mul_lo_u32 v10, s28, v16
	;; [unrolled: 1-line block ×4, first 2 shown]
	v_dual_mov_b32 v7, v5 :: v_dual_mov_b32 v20, v17
	s_mov_b32 s26, 0
	s_delay_alu instid0(VALU_DEP_4) | instskip(NEXT) | instid1(VALU_DEP_3)
	v_dual_ashrrev_i32 v9, 31, v8 :: v_dual_ashrrev_i32 v11, 31, v10
	v_dual_ashrrev_i32 v13, 31, v12 :: v_dual_ashrrev_i32 v15, 31, v14
	s_delay_alu instid0(VALU_DEP_2) | instskip(NEXT) | instid1(VALU_DEP_3)
	v_lshl_add_u64 v[8:9], v[8:9], 3, s[36:37]
	v_lshl_add_u64 v[10:11], v[10:11], 3, s[38:39]
	s_delay_alu instid0(VALU_DEP_2) | instskip(NEXT) | instid1(VALU_DEP_2)
	v_lshl_add_u64 v[12:13], v[12:13], 3, v[8:9]
	v_lshl_add_u64 v[8:9], v[14:15], 3, v[10:11]
	s_delay_alu instid0(VALU_DEP_2)
	v_add_nc_u64_e32 v[10:11], v[12:13], v[6:7]
	v_mov_b32_e32 v7, v19
	s_branch .LBB34_14
.LBB34_13:                              ;   in Loop: Header=BB34_14 Depth=2
	s_or_b32 exec_lo, exec_lo, s1
	s_wait_loadcnt 0x0
	v_fmac_f64_e32 v[2:3], v[12:13], v[14:15]
	v_cmp_le_i32_e64 s0, s22, v20
	v_add_nc_u64_e32 v[10:11], 0x100, v[10:11]
	s_or_b32 s26, s0, s26
	s_delay_alu instid0(SALU_CYCLE_1)
	s_and_not1_b32 exec_lo, exec_lo, s26
	s_cbranch_execz .LBB34_3
.LBB34_14:                              ;   Parent Loop BB34_6 Depth=1
                                        ; =>  This Loop Header: Depth=2
                                        ;       Child Loop BB34_20 Depth 3
	global_load_b64 v[12:13], v[10:11], off
	v_mad_u32 v4, v7, s9, s13
	v_mov_b64_e32 v[14:15], 0
	s_mov_b32 s27, exec_lo
	s_wait_xcnt 0x0
	s_delay_alu instid0(VALU_DEP_2)
	v_cmpx_lt_i32_e32 -1, v4
	s_cbranch_execz .LBB34_18
; %bb.15:                               ;   in Loop: Header=BB34_14 Depth=2
	v_mad_u32 v21, v20, s8, s11
	v_cmp_gt_i32_e64 s0, s19, v4
	v_mov_b64_e32 v[14:15], 0
	s_delay_alu instid0(VALU_DEP_3) | instskip(SKIP_2) | instid1(SALU_CYCLE_1)
	v_cmp_gt_i32_e64 s1, s18, v21
	v_cmp_lt_i32_e64 s2, -1, v21
	s_and_b32 s0, s0, s1
	s_and_b32 s1, s0, s2
	s_delay_alu instid0(SALU_CYCLE_1)
	s_and_saveexec_b32 s0, s1
	s_cbranch_execz .LBB34_17
; %bb.16:                               ;   in Loop: Header=BB34_14 Depth=2
	v_mad_u32 v4, v21, s19, v4
	s_delay_alu instid0(VALU_DEP_1)
	v_lshl_add_u64 v[14:15], v[4:5], 3, v[8:9]
	global_load_b64 v[14:15], v[14:15], off
.LBB34_17:                              ;   in Loop: Header=BB34_14 Depth=2
	s_wait_xcnt 0x0
	s_or_b32 exec_lo, exec_lo, s0
.LBB34_18:                              ;   in Loop: Header=BB34_14 Depth=2
	s_delay_alu instid0(SALU_CYCLE_1) | instskip(SKIP_2) | instid1(VALU_DEP_1)
	s_or_b32 exec_lo, exec_lo, s27
	v_add_nc_u32_e32 v7, 32, v7
	s_mov_b32 s1, exec_lo
	v_cmpx_le_i32_e64 s23, v7
	s_cbranch_execz .LBB34_13
; %bb.19:                               ;   in Loop: Header=BB34_14 Depth=2
	s_mov_b32 s2, 0
.LBB34_20:                              ;   Parent Loop BB34_6 Depth=1
                                        ;     Parent Loop BB34_14 Depth=2
                                        ; =>    This Inner Loop Header: Depth=3
	v_subrev_nc_u32_e32 v7, s23, v7
	v_add_nc_u32_e32 v20, 1, v20
	s_delay_alu instid0(VALU_DEP_2) | instskip(SKIP_1) | instid1(SALU_CYCLE_1)
	v_cmp_gt_i32_e64 s0, s23, v7
	s_or_b32 s2, s0, s2
	s_and_not1_b32 exec_lo, exec_lo, s2
	s_cbranch_execnz .LBB34_20
; %bb.21:                               ;   in Loop: Header=BB34_14 Depth=2
	s_or_b32 exec_lo, exec_lo, s2
	s_branch .LBB34_13
.LBB34_22:
	s_or_b32 exec_lo, exec_lo, s43
.LBB34_23:
	s_delay_alu instid0(SALU_CYCLE_1) | instskip(SKIP_3) | instid1(SALU_CYCLE_1)
	s_or_b32 exec_lo, exec_lo, s42
	s_load_b64 s[0:1], s[34:35], 0x0
	v_lshl_add_u32 v1, v0, 3, 0
	s_bcnt1_i32_b32 s2, s40
	s_cmp_lg_u32 s2, 1
	s_mov_b32 s2, -1
	ds_store_b64 v1, v[2:3]
	s_wait_dscnt 0x0
	s_barrier_signal -1
	s_barrier_wait -1
	s_cbranch_scc1 .LBB34_32
; %bb.24:
	s_and_not1_b32 vcc_lo, exec_lo, s2
	s_cbranch_vccnz .LBB34_28
.LBB34_25:
	s_cmp_lt_u32 s40, 2
	s_cbranch_scc0 .LBB34_30
.LBB34_26:
	s_mov_b32 s2, exec_lo
	v_cmpx_eq_u32_e32 0, v0
	s_cbranch_execz .LBB34_28
; %bb.27:
	s_mul_i32 s8, s4, s33
	s_mul_i32 s4, s6, s16
	s_delay_alu instid0(SALU_CYCLE_1)
	v_dual_mov_b32 v0, 0 :: v_dual_mov_b32 v2, s4
	s_mul_i32 s2, s15, s31
	s_ashr_i32 s9, s8, 31
	s_ashr_i32 s3, s2, 31
	ds_load_b64 v[0:1], v0
	s_lshl_b64 s[2:3], s[2:3], 3
	s_wait_kmcnt 0x0
	s_add_nc_u64 s[0:1], s[0:1], s[2:3]
	s_lshl_b64 s[2:3], s[8:9], 3
	s_delay_alu instid0(SALU_CYCLE_1) | instskip(SKIP_1) | instid1(SALU_CYCLE_1)
	s_add_nc_u64 s[0:1], s[0:1], s[2:3]
	s_mul_i32 s2, s5, s20
	s_ashr_i32 s3, s2, 31
	s_delay_alu instid0(SALU_CYCLE_1) | instskip(NEXT) | instid1(SALU_CYCLE_1)
	s_lshl_b64 s[2:3], s[2:3], 3
	s_add_nc_u64 s[0:1], s[0:1], s[2:3]
	s_wait_dscnt 0x0
	global_store_b64 v2, v[0:1], s[0:1] scale_offset
.LBB34_28:
	s_endpgm
.LBB34_29:                              ;   in Loop: Header=BB34_30 Depth=1
	s_or_b32 exec_lo, exec_lo, s3
	s_cmp_lt_u32 s40, 4
	s_mov_b32 s40, s2
	s_wait_dscnt 0x0
	s_barrier_signal -1
	s_barrier_wait -1
	s_cbranch_scc1 .LBB34_26
.LBB34_30:                              ; =>This Inner Loop Header: Depth=1
	s_lshr_b32 s2, s40, 1
	s_mov_b32 s3, exec_lo
	v_cmpx_gt_u32_e64 s2, v0
	s_cbranch_execz .LBB34_29
; %bb.31:                               ;   in Loop: Header=BB34_30 Depth=1
	v_lshl_add_u32 v2, s2, 3, v1
	ds_load_b64 v[2:3], v2
	ds_load_b64 v[4:5], v1
	s_wait_dscnt 0x0
	v_add_f64_e32 v[2:3], v[2:3], v[4:5]
	ds_store_b64 v1, v[2:3]
	s_branch .LBB34_29
.LBB34_32:
	s_trap 2
	; divergent unreachable
	s_cbranch_execz .LBB34_25
	s_branch .LBB34_28
	.section	.rodata,"a",@progbits
	.p2align	6, 0x0
	.amdhsa_kernel _ZN2at6native12_GLOBAL__N_144conv_depthwise3d_cuda_backward_weight_kernelIddLin1ELin1EEEvN5torch10headeronly6detail27GenericPackedTensorAccessorINS5_14TensorAccessorIN3c108ArrayRefIlEEKT_Lm4ENS4_16DefaultPtrTraitsEiEENS_6detail16IndexBoundsCheckILm5EiEESC_Lm5ESD_iEESI_NS6_INS7_ISA_SB_Lm4ESD_iEESH_SB_Lm5ESD_iEEiiiiiiiii
		.amdhsa_group_segment_fixed_size 0
		.amdhsa_private_segment_fixed_size 0
		.amdhsa_kernarg_size 440
		.amdhsa_user_sgpr_count 2
		.amdhsa_user_sgpr_dispatch_ptr 0
		.amdhsa_user_sgpr_queue_ptr 0
		.amdhsa_user_sgpr_kernarg_segment_ptr 1
		.amdhsa_user_sgpr_dispatch_id 0
		.amdhsa_user_sgpr_kernarg_preload_length 0
		.amdhsa_user_sgpr_kernarg_preload_offset 0
		.amdhsa_user_sgpr_private_segment_size 0
		.amdhsa_wavefront_size32 1
		.amdhsa_uses_dynamic_stack 0
		.amdhsa_enable_private_segment 0
		.amdhsa_system_sgpr_workgroup_id_x 1
		.amdhsa_system_sgpr_workgroup_id_y 0
		.amdhsa_system_sgpr_workgroup_id_z 0
		.amdhsa_system_sgpr_workgroup_info 0
		.amdhsa_system_vgpr_workitem_id 0
		.amdhsa_next_free_vgpr 22
		.amdhsa_next_free_sgpr 48
		.amdhsa_named_barrier_count 0
		.amdhsa_reserve_vcc 1
		.amdhsa_float_round_mode_32 0
		.amdhsa_float_round_mode_16_64 0
		.amdhsa_float_denorm_mode_32 3
		.amdhsa_float_denorm_mode_16_64 3
		.amdhsa_fp16_overflow 0
		.amdhsa_memory_ordered 1
		.amdhsa_forward_progress 1
		.amdhsa_inst_pref_size 17
		.amdhsa_round_robin_scheduling 0
		.amdhsa_exception_fp_ieee_invalid_op 0
		.amdhsa_exception_fp_denorm_src 0
		.amdhsa_exception_fp_ieee_div_zero 0
		.amdhsa_exception_fp_ieee_overflow 0
		.amdhsa_exception_fp_ieee_underflow 0
		.amdhsa_exception_fp_ieee_inexact 0
		.amdhsa_exception_int_div_zero 0
	.end_amdhsa_kernel
	.section	.text._ZN2at6native12_GLOBAL__N_144conv_depthwise3d_cuda_backward_weight_kernelIddLin1ELin1EEEvN5torch10headeronly6detail27GenericPackedTensorAccessorINS5_14TensorAccessorIN3c108ArrayRefIlEEKT_Lm4ENS4_16DefaultPtrTraitsEiEENS_6detail16IndexBoundsCheckILm5EiEESC_Lm5ESD_iEESI_NS6_INS7_ISA_SB_Lm4ESD_iEESH_SB_Lm5ESD_iEEiiiiiiiii,"axG",@progbits,_ZN2at6native12_GLOBAL__N_144conv_depthwise3d_cuda_backward_weight_kernelIddLin1ELin1EEEvN5torch10headeronly6detail27GenericPackedTensorAccessorINS5_14TensorAccessorIN3c108ArrayRefIlEEKT_Lm4ENS4_16DefaultPtrTraitsEiEENS_6detail16IndexBoundsCheckILm5EiEESC_Lm5ESD_iEESI_NS6_INS7_ISA_SB_Lm4ESD_iEESH_SB_Lm5ESD_iEEiiiiiiiii,comdat
.Lfunc_end34:
	.size	_ZN2at6native12_GLOBAL__N_144conv_depthwise3d_cuda_backward_weight_kernelIddLin1ELin1EEEvN5torch10headeronly6detail27GenericPackedTensorAccessorINS5_14TensorAccessorIN3c108ArrayRefIlEEKT_Lm4ENS4_16DefaultPtrTraitsEiEENS_6detail16IndexBoundsCheckILm5EiEESC_Lm5ESD_iEESI_NS6_INS7_ISA_SB_Lm4ESD_iEESH_SB_Lm5ESD_iEEiiiiiiiii, .Lfunc_end34-_ZN2at6native12_GLOBAL__N_144conv_depthwise3d_cuda_backward_weight_kernelIddLin1ELin1EEEvN5torch10headeronly6detail27GenericPackedTensorAccessorINS5_14TensorAccessorIN3c108ArrayRefIlEEKT_Lm4ENS4_16DefaultPtrTraitsEiEENS_6detail16IndexBoundsCheckILm5EiEESC_Lm5ESD_iEESI_NS6_INS7_ISA_SB_Lm4ESD_iEESH_SB_Lm5ESD_iEEiiiiiiiii
                                        ; -- End function
	.set _ZN2at6native12_GLOBAL__N_144conv_depthwise3d_cuda_backward_weight_kernelIddLin1ELin1EEEvN5torch10headeronly6detail27GenericPackedTensorAccessorINS5_14TensorAccessorIN3c108ArrayRefIlEEKT_Lm4ENS4_16DefaultPtrTraitsEiEENS_6detail16IndexBoundsCheckILm5EiEESC_Lm5ESD_iEESI_NS6_INS7_ISA_SB_Lm4ESD_iEESH_SB_Lm5ESD_iEEiiiiiiiii.num_vgpr, 22
	.set _ZN2at6native12_GLOBAL__N_144conv_depthwise3d_cuda_backward_weight_kernelIddLin1ELin1EEEvN5torch10headeronly6detail27GenericPackedTensorAccessorINS5_14TensorAccessorIN3c108ArrayRefIlEEKT_Lm4ENS4_16DefaultPtrTraitsEiEENS_6detail16IndexBoundsCheckILm5EiEESC_Lm5ESD_iEESI_NS6_INS7_ISA_SB_Lm4ESD_iEESH_SB_Lm5ESD_iEEiiiiiiiii.num_agpr, 0
	.set _ZN2at6native12_GLOBAL__N_144conv_depthwise3d_cuda_backward_weight_kernelIddLin1ELin1EEEvN5torch10headeronly6detail27GenericPackedTensorAccessorINS5_14TensorAccessorIN3c108ArrayRefIlEEKT_Lm4ENS4_16DefaultPtrTraitsEiEENS_6detail16IndexBoundsCheckILm5EiEESC_Lm5ESD_iEESI_NS6_INS7_ISA_SB_Lm4ESD_iEESH_SB_Lm5ESD_iEEiiiiiiiii.numbered_sgpr, 48
	.set _ZN2at6native12_GLOBAL__N_144conv_depthwise3d_cuda_backward_weight_kernelIddLin1ELin1EEEvN5torch10headeronly6detail27GenericPackedTensorAccessorINS5_14TensorAccessorIN3c108ArrayRefIlEEKT_Lm4ENS4_16DefaultPtrTraitsEiEENS_6detail16IndexBoundsCheckILm5EiEESC_Lm5ESD_iEESI_NS6_INS7_ISA_SB_Lm4ESD_iEESH_SB_Lm5ESD_iEEiiiiiiiii.num_named_barrier, 0
	.set _ZN2at6native12_GLOBAL__N_144conv_depthwise3d_cuda_backward_weight_kernelIddLin1ELin1EEEvN5torch10headeronly6detail27GenericPackedTensorAccessorINS5_14TensorAccessorIN3c108ArrayRefIlEEKT_Lm4ENS4_16DefaultPtrTraitsEiEENS_6detail16IndexBoundsCheckILm5EiEESC_Lm5ESD_iEESI_NS6_INS7_ISA_SB_Lm4ESD_iEESH_SB_Lm5ESD_iEEiiiiiiiii.private_seg_size, 0
	.set _ZN2at6native12_GLOBAL__N_144conv_depthwise3d_cuda_backward_weight_kernelIddLin1ELin1EEEvN5torch10headeronly6detail27GenericPackedTensorAccessorINS5_14TensorAccessorIN3c108ArrayRefIlEEKT_Lm4ENS4_16DefaultPtrTraitsEiEENS_6detail16IndexBoundsCheckILm5EiEESC_Lm5ESD_iEESI_NS6_INS7_ISA_SB_Lm4ESD_iEESH_SB_Lm5ESD_iEEiiiiiiiii.uses_vcc, 1
	.set _ZN2at6native12_GLOBAL__N_144conv_depthwise3d_cuda_backward_weight_kernelIddLin1ELin1EEEvN5torch10headeronly6detail27GenericPackedTensorAccessorINS5_14TensorAccessorIN3c108ArrayRefIlEEKT_Lm4ENS4_16DefaultPtrTraitsEiEENS_6detail16IndexBoundsCheckILm5EiEESC_Lm5ESD_iEESI_NS6_INS7_ISA_SB_Lm4ESD_iEESH_SB_Lm5ESD_iEEiiiiiiiii.uses_flat_scratch, 0
	.set _ZN2at6native12_GLOBAL__N_144conv_depthwise3d_cuda_backward_weight_kernelIddLin1ELin1EEEvN5torch10headeronly6detail27GenericPackedTensorAccessorINS5_14TensorAccessorIN3c108ArrayRefIlEEKT_Lm4ENS4_16DefaultPtrTraitsEiEENS_6detail16IndexBoundsCheckILm5EiEESC_Lm5ESD_iEESI_NS6_INS7_ISA_SB_Lm4ESD_iEESH_SB_Lm5ESD_iEEiiiiiiiii.has_dyn_sized_stack, 0
	.set _ZN2at6native12_GLOBAL__N_144conv_depthwise3d_cuda_backward_weight_kernelIddLin1ELin1EEEvN5torch10headeronly6detail27GenericPackedTensorAccessorINS5_14TensorAccessorIN3c108ArrayRefIlEEKT_Lm4ENS4_16DefaultPtrTraitsEiEENS_6detail16IndexBoundsCheckILm5EiEESC_Lm5ESD_iEESI_NS6_INS7_ISA_SB_Lm4ESD_iEESH_SB_Lm5ESD_iEEiiiiiiiii.has_recursion, 0
	.set _ZN2at6native12_GLOBAL__N_144conv_depthwise3d_cuda_backward_weight_kernelIddLin1ELin1EEEvN5torch10headeronly6detail27GenericPackedTensorAccessorINS5_14TensorAccessorIN3c108ArrayRefIlEEKT_Lm4ENS4_16DefaultPtrTraitsEiEENS_6detail16IndexBoundsCheckILm5EiEESC_Lm5ESD_iEESI_NS6_INS7_ISA_SB_Lm4ESD_iEESH_SB_Lm5ESD_iEEiiiiiiiii.has_indirect_call, 0
	.section	.AMDGPU.csdata,"",@progbits
; Kernel info:
; codeLenInByte = 2084
; TotalNumSgprs: 50
; NumVgprs: 22
; ScratchSize: 0
; MemoryBound: 0
; FloatMode: 240
; IeeeMode: 1
; LDSByteSize: 0 bytes/workgroup (compile time only)
; SGPRBlocks: 0
; VGPRBlocks: 1
; NumSGPRsForWavesPerEU: 50
; NumVGPRsForWavesPerEU: 22
; NamedBarCnt: 0
; Occupancy: 16
; WaveLimiterHint : 1
; COMPUTE_PGM_RSRC2:SCRATCH_EN: 0
; COMPUTE_PGM_RSRC2:USER_SGPR: 2
; COMPUTE_PGM_RSRC2:TRAP_HANDLER: 0
; COMPUTE_PGM_RSRC2:TGID_X_EN: 1
; COMPUTE_PGM_RSRC2:TGID_Y_EN: 0
; COMPUTE_PGM_RSRC2:TGID_Z_EN: 0
; COMPUTE_PGM_RSRC2:TIDIG_COMP_CNT: 0
	.section	.text._ZN2at6native12_GLOBAL__N_144conv_depthwise3d_cuda_backward_weight_kernelIffLi1ELi1EEEvN5torch10headeronly6detail27GenericPackedTensorAccessorINS5_14TensorAccessorIN3c108ArrayRefIlEEKT_Lm4ENS4_16DefaultPtrTraitsEiEENS_6detail16IndexBoundsCheckILm5EiEESC_Lm5ESD_iEESI_NS6_INS7_ISA_SB_Lm4ESD_iEESH_SB_Lm5ESD_iEEiiiiiiiii,"axG",@progbits,_ZN2at6native12_GLOBAL__N_144conv_depthwise3d_cuda_backward_weight_kernelIffLi1ELi1EEEvN5torch10headeronly6detail27GenericPackedTensorAccessorINS5_14TensorAccessorIN3c108ArrayRefIlEEKT_Lm4ENS4_16DefaultPtrTraitsEiEENS_6detail16IndexBoundsCheckILm5EiEESC_Lm5ESD_iEESI_NS6_INS7_ISA_SB_Lm4ESD_iEESH_SB_Lm5ESD_iEEiiiiiiiii,comdat
	.globl	_ZN2at6native12_GLOBAL__N_144conv_depthwise3d_cuda_backward_weight_kernelIffLi1ELi1EEEvN5torch10headeronly6detail27GenericPackedTensorAccessorINS5_14TensorAccessorIN3c108ArrayRefIlEEKT_Lm4ENS4_16DefaultPtrTraitsEiEENS_6detail16IndexBoundsCheckILm5EiEESC_Lm5ESD_iEESI_NS6_INS7_ISA_SB_Lm4ESD_iEESH_SB_Lm5ESD_iEEiiiiiiiii ; -- Begin function _ZN2at6native12_GLOBAL__N_144conv_depthwise3d_cuda_backward_weight_kernelIffLi1ELi1EEEvN5torch10headeronly6detail27GenericPackedTensorAccessorINS5_14TensorAccessorIN3c108ArrayRefIlEEKT_Lm4ENS4_16DefaultPtrTraitsEiEENS_6detail16IndexBoundsCheckILm5EiEESC_Lm5ESD_iEESI_NS6_INS7_ISA_SB_Lm4ESD_iEESH_SB_Lm5ESD_iEEiiiiiiiii
	.p2align	8
	.type	_ZN2at6native12_GLOBAL__N_144conv_depthwise3d_cuda_backward_weight_kernelIffLi1ELi1EEEvN5torch10headeronly6detail27GenericPackedTensorAccessorINS5_14TensorAccessorIN3c108ArrayRefIlEEKT_Lm4ENS4_16DefaultPtrTraitsEiEENS_6detail16IndexBoundsCheckILm5EiEESC_Lm5ESD_iEESI_NS6_INS7_ISA_SB_Lm4ESD_iEESH_SB_Lm5ESD_iEEiiiiiiiii,@function
_ZN2at6native12_GLOBAL__N_144conv_depthwise3d_cuda_backward_weight_kernelIffLi1ELi1EEEvN5torch10headeronly6detail27GenericPackedTensorAccessorINS5_14TensorAccessorIN3c108ArrayRefIlEEKT_Lm4ENS4_16DefaultPtrTraitsEiEENS_6detail16IndexBoundsCheckILm5EiEESC_Lm5ESD_iEESI_NS6_INS7_ISA_SB_Lm4ESD_iEESH_SB_Lm5ESD_iEEiiiiiiiii: ; @_ZN2at6native12_GLOBAL__N_144conv_depthwise3d_cuda_backward_weight_kernelIffLi1ELi1EEEvN5torch10headeronly6detail27GenericPackedTensorAccessorINS5_14TensorAccessorIN3c108ArrayRefIlEEKT_Lm4ENS4_16DefaultPtrTraitsEiEENS_6detail16IndexBoundsCheckILm5EiEESC_Lm5ESD_iEESI_NS6_INS7_ISA_SB_Lm4ESD_iEESH_SB_Lm5ESD_iEEiiiiiiiii
; %bb.0:
	s_load_b128 s[4:7], s[0:1], 0x70
	s_and_b32 s8, ttmp6, 15
	s_getreg_b32 s9, hwreg(HW_REG_IB_STS2, 6, 4)
	s_load_b128 s[16:19], s[0:1], 0xc
	s_wait_kmcnt 0x0
	s_cvt_f32_u32 s2, s6
	s_delay_alu instid0(SALU_CYCLE_3) | instskip(SKIP_1) | instid1(SALU_CYCLE_1)
	v_rcp_iflag_f32_e32 v1, s2
	s_bfe_u32 s2, ttmp6, 0x4000c
	s_add_co_i32 s2, s2, 1
	s_delay_alu instid0(SALU_CYCLE_1) | instskip(SKIP_1) | instid1(TRANS32_DEP_1)
	s_mul_i32 s2, ttmp9, s2
	v_nop
	v_readfirstlane_b32 s3, v1
	s_add_co_i32 s8, s8, s2
	s_cmp_eq_u32 s9, 0
	s_cselect_b32 s2, ttmp9, s8
	s_mul_f32 s3, s3, 0x4f7ffffe
	s_cvt_f32_u32 s8, s5
	s_sub_co_i32 s9, 0, s6
	s_delay_alu instid0(SALU_CYCLE_1) | instskip(NEXT) | instid1(SALU_CYCLE_1)
	s_cvt_u32_f32 s3, s3
	v_rcp_iflag_f32_e32 v1, s8
	s_delay_alu instid0(SALU_CYCLE_2) | instskip(NEXT) | instid1(SALU_CYCLE_1)
	s_mul_i32 s9, s9, s3
	s_mul_hi_u32 s8, s3, s9
	s_delay_alu instid0(SALU_CYCLE_1) | instskip(SKIP_1) | instid1(TRANS32_DEP_1)
	s_add_co_i32 s3, s3, s8
	v_nop
	v_readfirstlane_b32 s10, v1
	s_mul_hi_u32 s3, s2, s3
	s_cvt_f32_u32 s8, s4
	s_mul_i32 s9, s3, s6
	s_add_co_i32 s11, s3, 1
	s_sub_co_i32 s9, s2, s9
	s_mul_f32 s10, s10, 0x4f7ffffe
	s_sub_co_i32 s12, s9, s6
	s_cmp_ge_u32 s9, s6
	v_rcp_iflag_f32_e32 v1, s8
	s_cselect_b32 s3, s11, s3
	s_cselect_b32 s9, s12, s9
	s_add_co_i32 s11, s3, 1
	s_cmp_ge_u32 s9, s6
	s_cvt_u32_f32 s9, s10
	s_cselect_b32 s20, s11, s3
	s_sub_co_i32 s3, 0, s5
	s_load_b128 s[12:15], s[0:1], 0x3c
	s_mul_i32 s3, s3, s9
	s_delay_alu instid0(SALU_CYCLE_1) | instskip(NEXT) | instid1(SALU_CYCLE_1)
	s_mul_hi_u32 s3, s9, s3
	s_add_co_i32 s9, s9, s3
	s_delay_alu instid0(SALU_CYCLE_1)
	s_mul_hi_u32 s3, s20, s9
	v_nop
	v_readfirstlane_b32 s9, v1
	s_mul_i32 s8, s3, s5
	s_add_co_i32 s10, s3, 1
	s_sub_co_i32 s8, s20, s8
	s_delay_alu instid0(SALU_CYCLE_1)
	s_sub_co_i32 s11, s8, s5
	s_cmp_ge_u32 s8, s5
	s_mul_f32 s9, s9, 0x4f7ffffe
	s_cselect_b32 s3, s10, s3
	s_cselect_b32 s8, s11, s8
	s_add_co_i32 s10, s3, 1
	s_cmp_ge_u32 s8, s5
	s_cvt_u32_f32 s8, s9
	s_cselect_b32 s21, s10, s3
	s_sub_co_i32 s3, 0, s4
	s_delay_alu instid0(SALU_CYCLE_1) | instskip(NEXT) | instid1(SALU_CYCLE_1)
	s_mul_i32 s3, s3, s8
	s_mul_hi_u32 s3, s8, s3
	s_delay_alu instid0(SALU_CYCLE_1) | instskip(NEXT) | instid1(SALU_CYCLE_1)
	s_add_co_i32 s8, s8, s3
	s_mul_hi_u32 s3, s21, s8
	s_delay_alu instid0(SALU_CYCLE_1) | instskip(SKIP_2) | instid1(SALU_CYCLE_1)
	s_mul_i32 s8, s3, s4
	s_add_co_i32 s9, s3, 1
	s_sub_co_i32 s8, s21, s8
	s_sub_co_i32 s10, s8, s4
	s_cmp_ge_u32 s8, s4
	s_cselect_b32 s3, s9, s3
	s_cselect_b32 s8, s10, s8
	s_add_co_i32 s9, s3, 1
	s_cmp_ge_u32 s8, s4
	s_cselect_b32 s27, s9, s3
	s_wait_kmcnt 0x0
	s_abs_i32 s3, s12
	s_abs_i32 s10, s16
	s_cvt_f32_u32 s8, s3
	s_sub_co_i32 s9, 0, s3
	s_delay_alu instid0(SALU_CYCLE_2) | instskip(SKIP_1) | instid1(TRANS32_DEP_1)
	v_rcp_iflag_f32_e32 v1, s8
	v_nop
	v_readfirstlane_b32 s8, v1
	s_mul_f32 s8, s8, 0x4f7ffffe
	s_delay_alu instid0(SALU_CYCLE_3) | instskip(NEXT) | instid1(SALU_CYCLE_3)
	s_cvt_u32_f32 s8, s8
	s_mul_i32 s9, s9, s8
	s_delay_alu instid0(SALU_CYCLE_1) | instskip(NEXT) | instid1(SALU_CYCLE_1)
	s_mul_hi_u32 s9, s8, s9
	s_add_co_i32 s8, s8, s9
	s_xor_b32 s9, s16, s12
	s_mul_hi_u32 s8, s10, s8
	s_ashr_i32 s9, s9, 31
	s_mul_i32 s11, s8, s3
	s_delay_alu instid0(SALU_CYCLE_1)
	s_sub_co_i32 s10, s10, s11
	s_add_co_i32 s11, s8, 1
	s_sub_co_i32 s12, s10, s3
	s_cmp_ge_u32 s10, s3
	s_cselect_b32 s8, s11, s8
	s_cselect_b32 s10, s12, s10
	s_add_co_i32 s11, s8, 1
	s_cmp_ge_u32 s10, s3
	s_cselect_b32 s3, s11, s8
	s_load_b32 s8, s[0:1], 0x68
	s_xor_b32 s3, s3, s9
	s_delay_alu instid0(SALU_CYCLE_1) | instskip(NEXT) | instid1(SALU_CYCLE_1)
	s_sub_co_i32 s23, s3, s9
	s_abs_i32 s22, s23
	s_delay_alu instid0(SALU_CYCLE_1) | instskip(NEXT) | instid1(SALU_CYCLE_3)
	s_cvt_f32_u32 s3, s22
	v_rcp_iflag_f32_e32 v1, s3
	s_mov_b32 s3, 0
	v_nop
	s_delay_alu instid0(TRANS32_DEP_1)
	v_readfirstlane_b32 s24, v1
	s_wait_kmcnt 0x0
	s_cmp_ge_i32 s27, s8
	s_cbranch_scc1 .LBB35_28
; %bb.1:
	s_load_b32 s37, s[0:1], 0x38
	s_add_nc_u64 s[28:29], s[0:1], 0x60
	s_load_b32 s25, s[0:1], 0xc4
	s_load_b128 s[8:11], s[28:29], 0x24
	v_dual_mov_b32 v10, 0 :: v_dual_lshrrev_b32 v1, 5, v0
	s_mul_i32 s6, s20, s6
	s_mul_i32 s5, s21, s5
	;; [unrolled: 1-line block ×3, first 2 shown]
	s_sub_co_i32 s12, s2, s6
	s_sub_co_i32 s16, s20, s5
	;; [unrolled: 1-line block ×3, first 2 shown]
	s_mov_b32 s38, exec_lo
	s_wait_kmcnt 0x0
	s_mul_i32 s37, s37, s17
	s_and_b32 s36, s25, 0xffff
	v_cmpx_gt_i32_e64 s37, v1
	s_cbranch_execz .LBB35_23
; %bb.2:
	s_mul_f32 s2, s24, 0x4f7ffffe
	s_ashr_i32 s6, s27, 31
	s_mov_b32 s39, 0
	v_mov_b32_e32 v10, 0
	s_cvt_u32_f32 s4, s2
	s_sub_co_i32 s2, 0, s22
	s_delay_alu instid0(SALU_CYCLE_2)
	s_mul_i32 s5, s2, s4
	s_abs_i32 s2, s27
	s_mul_hi_u32 s20, s4, s5
	s_mov_b32 s5, s3
	s_add_co_i32 s4, s4, s20
	s_ashr_i32 s20, s23, 31
	s_mul_u64 s[4:5], s[2:3], s[4:5]
	s_lshr_b32 s3, s36, 5
	s_mul_i32 s4, s5, s22
	s_xor_b32 s42, s6, s20
	s_sub_co_i32 s2, s2, s4
	s_add_co_i32 s4, s5, 1
	s_sub_co_i32 s6, s2, s22
	s_cmp_ge_u32 s2, s22
	s_cselect_b32 s4, s4, s5
	s_cselect_b32 s2, s6, s2
	s_add_co_i32 s5, s4, 1
	s_cmp_ge_u32 s2, s22
	s_clause 0x1
	s_load_b128 s[20:23], s[0:1], 0x9c
	s_load_b64 s[40:41], s[0:1], 0xac
	s_cselect_b32 s43, s5, s4
	s_abs_i32 s44, s17
	s_abs_i32 s45, s19
	s_cvt_f32_u32 s2, s44
	s_cvt_f32_u32 s4, s45
	s_sub_co_i32 s5, 0, s44
	s_sub_co_i32 s6, 0, s45
	v_rcp_iflag_f32_e32 v2, s2
	v_rcp_iflag_f32_e32 v3, s4
	s_delay_alu instid0(TRANS32_DEP_2) | instskip(NEXT) | instid1(TRANS32_DEP_1)
	v_readfirstlane_b32 s2, v2
	v_readfirstlane_b32 s4, v3
	s_wait_kmcnt 0x0
	s_mul_i32 s23, s33, s23
	s_mul_f32 s2, s2, 0x4f7ffffe
	s_mul_f32 s4, s4, 0x4f7ffffe
	s_delay_alu instid0(SALU_CYCLE_2) | instskip(NEXT) | instid1(SALU_CYCLE_2)
	s_cvt_u32_f32 s2, s2
	s_cvt_u32_f32 s4, s4
	s_delay_alu instid0(SALU_CYCLE_2) | instskip(NEXT) | instid1(SALU_CYCLE_2)
	s_mul_i32 s5, s5, s2
	s_mul_i32 s6, s6, s4
	s_mul_hi_u32 s5, s2, s5
	s_delay_alu instid0(SALU_CYCLE_1) | instskip(SKIP_4) | instid1(VALU_DEP_2)
	s_add_co_i32 s2, s2, s5
	s_mul_hi_u32 s5, s4, s6
	v_mul_hi_u32 v3, v1, s2
	v_and_b32_e32 v2, 31, v0
	s_add_co_i32 s4, s4, s5
	v_add_nc_u32_e32 v7, 1, v3
	s_delay_alu instid0(VALU_DEP_2)
	v_mul_hi_u32 v4, v2, s4
	v_mul_lo_u32 v5, v3, s44
	s_clause 0x3
	s_load_b64 s[30:31], s[0:1], 0x0
	s_load_b96 s[4:6], s[0:1], 0x1c
	s_load_b64 s[34:35], s[0:1], 0x30
	s_load_b96 s[24:26], s[0:1], 0x4c
	s_wait_xcnt 0x0
	s_ashr_i32 s1, s17, 31
	s_delay_alu instid0(VALU_DEP_2) | instskip(NEXT) | instid1(VALU_DEP_1)
	v_mul_lo_u32 v6, v4, s45
	v_dual_sub_nc_u32 v5, v1, v5 :: v_dual_sub_nc_u32 v6, v2, v6
	s_delay_alu instid0(VALU_DEP_1)
	v_cmp_le_u32_e32 vcc_lo, s44, v5
	v_add_nc_u32_e32 v8, 1, v4
	s_wait_kmcnt 0x0
	s_mul_i32 s0, s5, s27
	s_sub_co_i32 s5, s23, s20
	v_cmp_le_u32_e64 s2, s45, v6
	v_cndmask_b32_e32 v3, v3, v7, vcc_lo
	v_subrev_nc_u32_e32 v7, s44, v5
	v_subrev_nc_u32_e32 v9, s45, v6
	s_delay_alu instid0(VALU_DEP_2) | instskip(NEXT) | instid1(VALU_DEP_2)
	v_dual_cndmask_b32 v4, v4, v8, s2 :: v_dual_cndmask_b32 v5, v5, v7, vcc_lo
	v_dual_add_nc_u32 v7, 1, v3 :: v_dual_cndmask_b32 v6, v6, v9, s2
	s_ashr_i32 s2, s19, 31
	s_delay_alu instid0(VALU_DEP_2) | instskip(NEXT) | instid1(VALU_DEP_2)
	v_cmp_le_u32_e32 vcc_lo, s44, v5
	v_dual_cndmask_b32 v5, v3, v7 :: v_dual_add_nc_u32 v8, 1, v4
	s_delay_alu instid0(VALU_DEP_3) | instskip(NEXT) | instid1(VALU_DEP_2)
	v_cmp_le_u32_e32 vcc_lo, s45, v6
	v_dual_mov_b32 v3, 0 :: v_dual_bitop2_b32 v5, s1, v5 bitop3:0x14
	s_delay_alu instid0(VALU_DEP_3) | instskip(NEXT) | instid1(VALU_DEP_1)
	v_cndmask_b32_e32 v4, v4, v8, vcc_lo
	v_dual_lshlrev_b32 v4, 2, v2 :: v_dual_bitop2_b32 v6, s2, v4 bitop3:0x14
	s_delay_alu instid0(VALU_DEP_3) | instskip(SKIP_1) | instid1(SALU_CYCLE_1)
	v_subrev_nc_u32_e32 v11, s1, v5
	s_xor_b32 s1, s43, s42
	s_sub_co_i32 s1, s1, s42
	s_delay_alu instid0(VALU_DEP_1)
	v_mul_lo_u32 v5, v11, s17
	s_mul_i32 s42, s25, s1
	s_ashr_i32 s1, s0, 31
	s_ashr_i32 s43, s42, 31
	s_lshl_b64 s[0:1], s[0:1], 2
	s_lshl_b64 s[42:43], s[42:43], 2
	s_add_nc_u64 s[30:31], s[30:31], s[0:1]
	s_mul_i32 s0, s16, s40
	s_add_nc_u64 s[34:35], s[34:35], s[42:43]
	s_sub_co_i32 s21, s0, s21
	s_delay_alu instid0(VALU_DEP_1) | instskip(SKIP_2) | instid1(SALU_CYCLE_1)
	v_sub_nc_u32_e32 v13, v1, v5
	v_subrev_nc_u32_e32 v12, s2, v6
	s_mul_i32 s2, s12, s41
	s_sub_co_i32 s20, s2, s22
	s_delay_alu instid0(VALU_DEP_1) | instskip(SKIP_1) | instid1(VALU_DEP_2)
	v_mul_lo_u32 v6, v12, s19
	v_cmp_gt_i32_e32 vcc_lo, s18, v12
	v_sub_nc_u32_e32 v14, v2, v6
	s_branch .LBB35_6
.LBB35_3:                               ;   in Loop: Header=BB35_6 Depth=1
	s_or_b32 exec_lo, exec_lo, s25
.LBB35_4:                               ;   in Loop: Header=BB35_6 Depth=1
	s_delay_alu instid0(SALU_CYCLE_1)
	s_or_b32 exec_lo, exec_lo, s23
.LBB35_5:                               ;   in Loop: Header=BB35_6 Depth=1
	s_delay_alu instid0(SALU_CYCLE_1) | instskip(SKIP_2) | instid1(VALU_DEP_2)
	s_or_b32 exec_lo, exec_lo, s22
	v_add_nc_u32_e32 v1, s3, v1
	v_add_nc_u32_e32 v13, s3, v13
	v_cmp_le_i32_e64 s0, s37, v1
	s_or_b32 s39, s0, s39
	s_delay_alu instid0(SALU_CYCLE_1)
	s_and_not1_b32 exec_lo, exec_lo, s39
	s_cbranch_execz .LBB35_22
.LBB35_6:                               ; =>This Loop Header: Depth=1
                                        ;     Child Loop BB35_8 Depth 2
                                        ;     Child Loop BB35_14 Depth 2
                                        ;       Child Loop BB35_20 Depth 3
	s_mov_b32 s1, exec_lo
	v_cmpx_le_i32_e64 s17, v13
	s_cbranch_execz .LBB35_10
; %bb.7:                                ;   in Loop: Header=BB35_6 Depth=1
	s_mov_b32 s2, 0
.LBB35_8:                               ;   Parent Loop BB35_6 Depth=1
                                        ; =>  This Inner Loop Header: Depth=2
	v_subrev_nc_u32_e32 v13, s17, v13
	v_add_nc_u32_e32 v11, 1, v11
	s_delay_alu instid0(VALU_DEP_2) | instskip(SKIP_1) | instid1(SALU_CYCLE_1)
	v_cmp_gt_i32_e64 s0, s17, v13
	s_or_b32 s2, s0, s2
	s_and_not1_b32 exec_lo, exec_lo, s2
	s_cbranch_execnz .LBB35_8
; %bb.9:                                ;   in Loop: Header=BB35_6 Depth=1
	s_or_b32 exec_lo, exec_lo, s2
.LBB35_10:                              ;   in Loop: Header=BB35_6 Depth=1
	s_delay_alu instid0(SALU_CYCLE_1) | instskip(SKIP_1) | instid1(VALU_DEP_1)
	s_or_b32 exec_lo, exec_lo, s1
	v_mad_u32 v2, v13, s11, s5
	v_cmp_lt_i32_e64 s0, -1, v2
	v_cmp_gt_i32_e64 s1, s13, v2
	s_and_b32 s0, s0, s1
	s_delay_alu instid0(SALU_CYCLE_1)
	s_and_saveexec_b32 s22, s0
	s_cbranch_execz .LBB35_5
; %bb.11:                               ;   in Loop: Header=BB35_6 Depth=1
	s_and_saveexec_b32 s23, vcc_lo
	s_cbranch_execz .LBB35_4
; %bb.12:                               ;   in Loop: Header=BB35_6 Depth=1
	v_mul_lo_u32 v6, s4, v11
	v_mul_lo_u32 v8, s24, v11
	;; [unrolled: 1-line block ×4, first 2 shown]
	v_dual_mov_b32 v5, v3 :: v_dual_mov_b32 v15, v12
	s_mov_b32 s25, 0
	s_delay_alu instid0(VALU_DEP_4) | instskip(NEXT) | instid1(VALU_DEP_3)
	v_dual_ashrrev_i32 v7, 31, v6 :: v_dual_ashrrev_i32 v9, 31, v8
	v_dual_ashrrev_i32 v17, 31, v16 :: v_dual_ashrrev_i32 v19, 31, v18
	s_delay_alu instid0(VALU_DEP_2) | instskip(NEXT) | instid1(VALU_DEP_3)
	v_lshl_add_u64 v[6:7], v[6:7], 2, s[30:31]
	v_lshl_add_u64 v[8:9], v[8:9], 2, s[34:35]
	s_delay_alu instid0(VALU_DEP_2) | instskip(NEXT) | instid1(VALU_DEP_2)
	v_lshl_add_u64 v[16:17], v[16:17], 2, v[6:7]
	v_lshl_add_u64 v[6:7], v[18:19], 2, v[8:9]
	s_delay_alu instid0(VALU_DEP_2)
	v_add_nc_u64_e32 v[8:9], v[16:17], v[4:5]
	v_mov_b32_e32 v5, v14
	s_branch .LBB35_14
.LBB35_13:                              ;   in Loop: Header=BB35_14 Depth=2
	s_or_b32 exec_lo, exec_lo, s1
	v_cmp_le_i32_e64 s0, s18, v15
	v_add_nc_u64_e32 v[8:9], 0x80, v[8:9]
	s_wait_loadcnt 0x0
	v_fmac_f32_e32 v10, v16, v2
	s_or_b32 s25, s0, s25
	s_delay_alu instid0(SALU_CYCLE_1)
	s_and_not1_b32 exec_lo, exec_lo, s25
	s_cbranch_execz .LBB35_3
.LBB35_14:                              ;   Parent Loop BB35_6 Depth=1
                                        ; =>  This Loop Header: Depth=2
                                        ;       Child Loop BB35_20 Depth 3
	global_load_b32 v16, v[8:9], off
	v_dual_mov_b32 v2, 0 :: v_dual_add_nc_u32 v17, s20, v5
	s_mov_b32 s40, exec_lo
	s_wait_xcnt 0x0
	s_delay_alu instid0(VALU_DEP_1)
	v_cmpx_lt_i32_e32 -1, v17
	s_cbranch_execz .LBB35_18
; %bb.15:                               ;   in Loop: Header=BB35_14 Depth=2
	v_dual_add_nc_u32 v18, s21, v15 :: v_dual_mov_b32 v2, 0
	v_cmp_gt_i32_e64 s0, s15, v17
	s_delay_alu instid0(VALU_DEP_2) | instskip(SKIP_2) | instid1(SALU_CYCLE_1)
	v_cmp_gt_i32_e64 s1, s14, v18
	v_cmp_lt_i32_e64 s2, -1, v18
	s_and_b32 s0, s0, s1
	s_and_b32 s1, s0, s2
	s_delay_alu instid0(SALU_CYCLE_1)
	s_and_saveexec_b32 s0, s1
	s_cbranch_execz .LBB35_17
; %bb.16:                               ;   in Loop: Header=BB35_14 Depth=2
	v_mad_u32 v2, v18, s15, v17
	s_delay_alu instid0(VALU_DEP_1)
	v_lshl_add_u64 v[18:19], v[2:3], 2, v[6:7]
	global_load_b32 v2, v[18:19], off
.LBB35_17:                              ;   in Loop: Header=BB35_14 Depth=2
	s_wait_xcnt 0x0
	s_or_b32 exec_lo, exec_lo, s0
.LBB35_18:                              ;   in Loop: Header=BB35_14 Depth=2
	s_delay_alu instid0(SALU_CYCLE_1) | instskip(SKIP_2) | instid1(VALU_DEP_1)
	s_or_b32 exec_lo, exec_lo, s40
	v_add_nc_u32_e32 v5, 32, v5
	s_mov_b32 s1, exec_lo
	v_cmpx_le_i32_e64 s19, v5
	s_cbranch_execz .LBB35_13
; %bb.19:                               ;   in Loop: Header=BB35_14 Depth=2
	s_mov_b32 s2, 0
.LBB35_20:                              ;   Parent Loop BB35_6 Depth=1
                                        ;     Parent Loop BB35_14 Depth=2
                                        ; =>    This Inner Loop Header: Depth=3
	v_subrev_nc_u32_e32 v5, s19, v5
	v_add_nc_u32_e32 v15, 1, v15
	s_delay_alu instid0(VALU_DEP_2) | instskip(SKIP_1) | instid1(SALU_CYCLE_1)
	v_cmp_gt_i32_e64 s0, s19, v5
	s_or_b32 s2, s0, s2
	s_and_not1_b32 exec_lo, exec_lo, s2
	s_cbranch_execnz .LBB35_20
; %bb.21:                               ;   in Loop: Header=BB35_14 Depth=2
	s_or_b32 exec_lo, exec_lo, s2
	s_branch .LBB35_13
.LBB35_22:
	s_or_b32 exec_lo, exec_lo, s39
.LBB35_23:
	s_delay_alu instid0(SALU_CYCLE_1) | instskip(SKIP_3) | instid1(SALU_CYCLE_1)
	s_or_b32 exec_lo, exec_lo, s38
	s_load_b64 s[0:1], s[28:29], 0x0
	v_lshl_add_u32 v1, v0, 2, 0
	s_bcnt1_i32_b32 s2, s36
	s_cmp_lg_u32 s2, 1
	s_mov_b32 s2, -1
	ds_store_b32 v1, v10
	s_wait_dscnt 0x0
	s_barrier_signal -1
	s_barrier_wait -1
	s_cbranch_scc1 .LBB35_32
; %bb.24:
	s_and_not1_b32 vcc_lo, exec_lo, s2
	s_cbranch_vccnz .LBB35_28
.LBB35_25:
	s_cmp_lt_u32 s36, 2
	s_cbranch_scc0 .LBB35_30
.LBB35_26:
	s_mov_b32 s2, exec_lo
	v_cmpx_eq_u32_e32 0, v0
	s_cbranch_execz .LBB35_28
; %bb.27:
	s_mul_i32 s2, s7, s27
	s_mul_i32 s4, s8, s33
	s_ashr_i32 s3, s2, 31
	s_ashr_i32 s5, s4, 31
	s_lshl_b64 s[2:3], s[2:3], 2
	s_wait_kmcnt 0x0
	s_add_nc_u64 s[0:1], s[0:1], s[2:3]
	s_lshl_b64 s[2:3], s[4:5], 2
	s_mul_i32 s4, s10, s12
	s_delay_alu instid0(SALU_CYCLE_1) | instskip(SKIP_4) | instid1(SALU_CYCLE_1)
	v_dual_mov_b32 v0, 0 :: v_dual_mov_b32 v1, s4
	s_add_nc_u64 s[0:1], s[0:1], s[2:3]
	s_mul_i32 s2, s9, s16
	ds_load_b32 v0, v0
	s_ashr_i32 s3, s2, 31
	s_lshl_b64 s[2:3], s[2:3], 2
	s_delay_alu instid0(SALU_CYCLE_1)
	s_add_nc_u64 s[0:1], s[0:1], s[2:3]
	s_wait_dscnt 0x0
	global_store_b32 v1, v0, s[0:1] scale_offset
.LBB35_28:
	s_endpgm
.LBB35_29:                              ;   in Loop: Header=BB35_30 Depth=1
	s_or_b32 exec_lo, exec_lo, s3
	s_cmp_lt_u32 s36, 4
	s_mov_b32 s36, s2
	s_wait_dscnt 0x0
	s_barrier_signal -1
	s_barrier_wait -1
	s_cbranch_scc1 .LBB35_26
.LBB35_30:                              ; =>This Inner Loop Header: Depth=1
	s_lshr_b32 s2, s36, 1
	s_mov_b32 s3, exec_lo
	v_cmpx_gt_u32_e64 s2, v0
	s_cbranch_execz .LBB35_29
; %bb.31:                               ;   in Loop: Header=BB35_30 Depth=1
	v_lshl_add_u32 v2, s2, 2, v1
	ds_load_b32 v2, v2
	ds_load_b32 v3, v1
	s_wait_dscnt 0x0
	v_add_f32_e32 v2, v2, v3
	ds_store_b32 v1, v2
	s_branch .LBB35_29
.LBB35_32:
	s_trap 2
	; divergent unreachable
	s_cbranch_execz .LBB35_25
	s_branch .LBB35_28
	.section	.rodata,"a",@progbits
	.p2align	6, 0x0
	.amdhsa_kernel _ZN2at6native12_GLOBAL__N_144conv_depthwise3d_cuda_backward_weight_kernelIffLi1ELi1EEEvN5torch10headeronly6detail27GenericPackedTensorAccessorINS5_14TensorAccessorIN3c108ArrayRefIlEEKT_Lm4ENS4_16DefaultPtrTraitsEiEENS_6detail16IndexBoundsCheckILm5EiEESC_Lm5ESD_iEESI_NS6_INS7_ISA_SB_Lm4ESD_iEESH_SB_Lm5ESD_iEEiiiiiiiii
		.amdhsa_group_segment_fixed_size 0
		.amdhsa_private_segment_fixed_size 0
		.amdhsa_kernarg_size 440
		.amdhsa_user_sgpr_count 2
		.amdhsa_user_sgpr_dispatch_ptr 0
		.amdhsa_user_sgpr_queue_ptr 0
		.amdhsa_user_sgpr_kernarg_segment_ptr 1
		.amdhsa_user_sgpr_dispatch_id 0
		.amdhsa_user_sgpr_kernarg_preload_length 0
		.amdhsa_user_sgpr_kernarg_preload_offset 0
		.amdhsa_user_sgpr_private_segment_size 0
		.amdhsa_wavefront_size32 1
		.amdhsa_uses_dynamic_stack 0
		.amdhsa_enable_private_segment 0
		.amdhsa_system_sgpr_workgroup_id_x 1
		.amdhsa_system_sgpr_workgroup_id_y 0
		.amdhsa_system_sgpr_workgroup_id_z 0
		.amdhsa_system_sgpr_workgroup_info 0
		.amdhsa_system_vgpr_workitem_id 0
		.amdhsa_next_free_vgpr 20
		.amdhsa_next_free_sgpr 46
		.amdhsa_named_barrier_count 0
		.amdhsa_reserve_vcc 1
		.amdhsa_float_round_mode_32 0
		.amdhsa_float_round_mode_16_64 0
		.amdhsa_float_denorm_mode_32 3
		.amdhsa_float_denorm_mode_16_64 3
		.amdhsa_fp16_overflow 0
		.amdhsa_memory_ordered 1
		.amdhsa_forward_progress 1
		.amdhsa_inst_pref_size 17
		.amdhsa_round_robin_scheduling 0
		.amdhsa_exception_fp_ieee_invalid_op 0
		.amdhsa_exception_fp_denorm_src 0
		.amdhsa_exception_fp_ieee_div_zero 0
		.amdhsa_exception_fp_ieee_overflow 0
		.amdhsa_exception_fp_ieee_underflow 0
		.amdhsa_exception_fp_ieee_inexact 0
		.amdhsa_exception_int_div_zero 0
	.end_amdhsa_kernel
	.section	.text._ZN2at6native12_GLOBAL__N_144conv_depthwise3d_cuda_backward_weight_kernelIffLi1ELi1EEEvN5torch10headeronly6detail27GenericPackedTensorAccessorINS5_14TensorAccessorIN3c108ArrayRefIlEEKT_Lm4ENS4_16DefaultPtrTraitsEiEENS_6detail16IndexBoundsCheckILm5EiEESC_Lm5ESD_iEESI_NS6_INS7_ISA_SB_Lm4ESD_iEESH_SB_Lm5ESD_iEEiiiiiiiii,"axG",@progbits,_ZN2at6native12_GLOBAL__N_144conv_depthwise3d_cuda_backward_weight_kernelIffLi1ELi1EEEvN5torch10headeronly6detail27GenericPackedTensorAccessorINS5_14TensorAccessorIN3c108ArrayRefIlEEKT_Lm4ENS4_16DefaultPtrTraitsEiEENS_6detail16IndexBoundsCheckILm5EiEESC_Lm5ESD_iEESI_NS6_INS7_ISA_SB_Lm4ESD_iEESH_SB_Lm5ESD_iEEiiiiiiiii,comdat
.Lfunc_end35:
	.size	_ZN2at6native12_GLOBAL__N_144conv_depthwise3d_cuda_backward_weight_kernelIffLi1ELi1EEEvN5torch10headeronly6detail27GenericPackedTensorAccessorINS5_14TensorAccessorIN3c108ArrayRefIlEEKT_Lm4ENS4_16DefaultPtrTraitsEiEENS_6detail16IndexBoundsCheckILm5EiEESC_Lm5ESD_iEESI_NS6_INS7_ISA_SB_Lm4ESD_iEESH_SB_Lm5ESD_iEEiiiiiiiii, .Lfunc_end35-_ZN2at6native12_GLOBAL__N_144conv_depthwise3d_cuda_backward_weight_kernelIffLi1ELi1EEEvN5torch10headeronly6detail27GenericPackedTensorAccessorINS5_14TensorAccessorIN3c108ArrayRefIlEEKT_Lm4ENS4_16DefaultPtrTraitsEiEENS_6detail16IndexBoundsCheckILm5EiEESC_Lm5ESD_iEESI_NS6_INS7_ISA_SB_Lm4ESD_iEESH_SB_Lm5ESD_iEEiiiiiiiii
                                        ; -- End function
	.set _ZN2at6native12_GLOBAL__N_144conv_depthwise3d_cuda_backward_weight_kernelIffLi1ELi1EEEvN5torch10headeronly6detail27GenericPackedTensorAccessorINS5_14TensorAccessorIN3c108ArrayRefIlEEKT_Lm4ENS4_16DefaultPtrTraitsEiEENS_6detail16IndexBoundsCheckILm5EiEESC_Lm5ESD_iEESI_NS6_INS7_ISA_SB_Lm4ESD_iEESH_SB_Lm5ESD_iEEiiiiiiiii.num_vgpr, 20
	.set _ZN2at6native12_GLOBAL__N_144conv_depthwise3d_cuda_backward_weight_kernelIffLi1ELi1EEEvN5torch10headeronly6detail27GenericPackedTensorAccessorINS5_14TensorAccessorIN3c108ArrayRefIlEEKT_Lm4ENS4_16DefaultPtrTraitsEiEENS_6detail16IndexBoundsCheckILm5EiEESC_Lm5ESD_iEESI_NS6_INS7_ISA_SB_Lm4ESD_iEESH_SB_Lm5ESD_iEEiiiiiiiii.num_agpr, 0
	.set _ZN2at6native12_GLOBAL__N_144conv_depthwise3d_cuda_backward_weight_kernelIffLi1ELi1EEEvN5torch10headeronly6detail27GenericPackedTensorAccessorINS5_14TensorAccessorIN3c108ArrayRefIlEEKT_Lm4ENS4_16DefaultPtrTraitsEiEENS_6detail16IndexBoundsCheckILm5EiEESC_Lm5ESD_iEESI_NS6_INS7_ISA_SB_Lm4ESD_iEESH_SB_Lm5ESD_iEEiiiiiiiii.numbered_sgpr, 46
	.set _ZN2at6native12_GLOBAL__N_144conv_depthwise3d_cuda_backward_weight_kernelIffLi1ELi1EEEvN5torch10headeronly6detail27GenericPackedTensorAccessorINS5_14TensorAccessorIN3c108ArrayRefIlEEKT_Lm4ENS4_16DefaultPtrTraitsEiEENS_6detail16IndexBoundsCheckILm5EiEESC_Lm5ESD_iEESI_NS6_INS7_ISA_SB_Lm4ESD_iEESH_SB_Lm5ESD_iEEiiiiiiiii.num_named_barrier, 0
	.set _ZN2at6native12_GLOBAL__N_144conv_depthwise3d_cuda_backward_weight_kernelIffLi1ELi1EEEvN5torch10headeronly6detail27GenericPackedTensorAccessorINS5_14TensorAccessorIN3c108ArrayRefIlEEKT_Lm4ENS4_16DefaultPtrTraitsEiEENS_6detail16IndexBoundsCheckILm5EiEESC_Lm5ESD_iEESI_NS6_INS7_ISA_SB_Lm4ESD_iEESH_SB_Lm5ESD_iEEiiiiiiiii.private_seg_size, 0
	.set _ZN2at6native12_GLOBAL__N_144conv_depthwise3d_cuda_backward_weight_kernelIffLi1ELi1EEEvN5torch10headeronly6detail27GenericPackedTensorAccessorINS5_14TensorAccessorIN3c108ArrayRefIlEEKT_Lm4ENS4_16DefaultPtrTraitsEiEENS_6detail16IndexBoundsCheckILm5EiEESC_Lm5ESD_iEESI_NS6_INS7_ISA_SB_Lm4ESD_iEESH_SB_Lm5ESD_iEEiiiiiiiii.uses_vcc, 1
	.set _ZN2at6native12_GLOBAL__N_144conv_depthwise3d_cuda_backward_weight_kernelIffLi1ELi1EEEvN5torch10headeronly6detail27GenericPackedTensorAccessorINS5_14TensorAccessorIN3c108ArrayRefIlEEKT_Lm4ENS4_16DefaultPtrTraitsEiEENS_6detail16IndexBoundsCheckILm5EiEESC_Lm5ESD_iEESI_NS6_INS7_ISA_SB_Lm4ESD_iEESH_SB_Lm5ESD_iEEiiiiiiiii.uses_flat_scratch, 0
	.set _ZN2at6native12_GLOBAL__N_144conv_depthwise3d_cuda_backward_weight_kernelIffLi1ELi1EEEvN5torch10headeronly6detail27GenericPackedTensorAccessorINS5_14TensorAccessorIN3c108ArrayRefIlEEKT_Lm4ENS4_16DefaultPtrTraitsEiEENS_6detail16IndexBoundsCheckILm5EiEESC_Lm5ESD_iEESI_NS6_INS7_ISA_SB_Lm4ESD_iEESH_SB_Lm5ESD_iEEiiiiiiiii.has_dyn_sized_stack, 0
	.set _ZN2at6native12_GLOBAL__N_144conv_depthwise3d_cuda_backward_weight_kernelIffLi1ELi1EEEvN5torch10headeronly6detail27GenericPackedTensorAccessorINS5_14TensorAccessorIN3c108ArrayRefIlEEKT_Lm4ENS4_16DefaultPtrTraitsEiEENS_6detail16IndexBoundsCheckILm5EiEESC_Lm5ESD_iEESI_NS6_INS7_ISA_SB_Lm4ESD_iEESH_SB_Lm5ESD_iEEiiiiiiiii.has_recursion, 0
	.set _ZN2at6native12_GLOBAL__N_144conv_depthwise3d_cuda_backward_weight_kernelIffLi1ELi1EEEvN5torch10headeronly6detail27GenericPackedTensorAccessorINS5_14TensorAccessorIN3c108ArrayRefIlEEKT_Lm4ENS4_16DefaultPtrTraitsEiEENS_6detail16IndexBoundsCheckILm5EiEESC_Lm5ESD_iEESI_NS6_INS7_ISA_SB_Lm4ESD_iEESH_SB_Lm5ESD_iEEiiiiiiiii.has_indirect_call, 0
	.section	.AMDGPU.csdata,"",@progbits
; Kernel info:
; codeLenInByte = 2088
; TotalNumSgprs: 48
; NumVgprs: 20
; ScratchSize: 0
; MemoryBound: 0
; FloatMode: 240
; IeeeMode: 1
; LDSByteSize: 0 bytes/workgroup (compile time only)
; SGPRBlocks: 0
; VGPRBlocks: 1
; NumSGPRsForWavesPerEU: 48
; NumVGPRsForWavesPerEU: 20
; NamedBarCnt: 0
; Occupancy: 16
; WaveLimiterHint : 1
; COMPUTE_PGM_RSRC2:SCRATCH_EN: 0
; COMPUTE_PGM_RSRC2:USER_SGPR: 2
; COMPUTE_PGM_RSRC2:TRAP_HANDLER: 0
; COMPUTE_PGM_RSRC2:TGID_X_EN: 1
; COMPUTE_PGM_RSRC2:TGID_Y_EN: 0
; COMPUTE_PGM_RSRC2:TGID_Z_EN: 0
; COMPUTE_PGM_RSRC2:TIDIG_COMP_CNT: 0
	.section	.text._ZN2at6native12_GLOBAL__N_144conv_depthwise3d_cuda_backward_weight_kernelIffLi2ELi2EEEvN5torch10headeronly6detail27GenericPackedTensorAccessorINS5_14TensorAccessorIN3c108ArrayRefIlEEKT_Lm4ENS4_16DefaultPtrTraitsEiEENS_6detail16IndexBoundsCheckILm5EiEESC_Lm5ESD_iEESI_NS6_INS7_ISA_SB_Lm4ESD_iEESH_SB_Lm5ESD_iEEiiiiiiiii,"axG",@progbits,_ZN2at6native12_GLOBAL__N_144conv_depthwise3d_cuda_backward_weight_kernelIffLi2ELi2EEEvN5torch10headeronly6detail27GenericPackedTensorAccessorINS5_14TensorAccessorIN3c108ArrayRefIlEEKT_Lm4ENS4_16DefaultPtrTraitsEiEENS_6detail16IndexBoundsCheckILm5EiEESC_Lm5ESD_iEESI_NS6_INS7_ISA_SB_Lm4ESD_iEESH_SB_Lm5ESD_iEEiiiiiiiii,comdat
	.globl	_ZN2at6native12_GLOBAL__N_144conv_depthwise3d_cuda_backward_weight_kernelIffLi2ELi2EEEvN5torch10headeronly6detail27GenericPackedTensorAccessorINS5_14TensorAccessorIN3c108ArrayRefIlEEKT_Lm4ENS4_16DefaultPtrTraitsEiEENS_6detail16IndexBoundsCheckILm5EiEESC_Lm5ESD_iEESI_NS6_INS7_ISA_SB_Lm4ESD_iEESH_SB_Lm5ESD_iEEiiiiiiiii ; -- Begin function _ZN2at6native12_GLOBAL__N_144conv_depthwise3d_cuda_backward_weight_kernelIffLi2ELi2EEEvN5torch10headeronly6detail27GenericPackedTensorAccessorINS5_14TensorAccessorIN3c108ArrayRefIlEEKT_Lm4ENS4_16DefaultPtrTraitsEiEENS_6detail16IndexBoundsCheckILm5EiEESC_Lm5ESD_iEESI_NS6_INS7_ISA_SB_Lm4ESD_iEESH_SB_Lm5ESD_iEEiiiiiiiii
	.p2align	8
	.type	_ZN2at6native12_GLOBAL__N_144conv_depthwise3d_cuda_backward_weight_kernelIffLi2ELi2EEEvN5torch10headeronly6detail27GenericPackedTensorAccessorINS5_14TensorAccessorIN3c108ArrayRefIlEEKT_Lm4ENS4_16DefaultPtrTraitsEiEENS_6detail16IndexBoundsCheckILm5EiEESC_Lm5ESD_iEESI_NS6_INS7_ISA_SB_Lm4ESD_iEESH_SB_Lm5ESD_iEEiiiiiiiii,@function
_ZN2at6native12_GLOBAL__N_144conv_depthwise3d_cuda_backward_weight_kernelIffLi2ELi2EEEvN5torch10headeronly6detail27GenericPackedTensorAccessorINS5_14TensorAccessorIN3c108ArrayRefIlEEKT_Lm4ENS4_16DefaultPtrTraitsEiEENS_6detail16IndexBoundsCheckILm5EiEESC_Lm5ESD_iEESI_NS6_INS7_ISA_SB_Lm4ESD_iEESH_SB_Lm5ESD_iEEiiiiiiiii: ; @_ZN2at6native12_GLOBAL__N_144conv_depthwise3d_cuda_backward_weight_kernelIffLi2ELi2EEEvN5torch10headeronly6detail27GenericPackedTensorAccessorINS5_14TensorAccessorIN3c108ArrayRefIlEEKT_Lm4ENS4_16DefaultPtrTraitsEiEENS_6detail16IndexBoundsCheckILm5EiEESC_Lm5ESD_iEESI_NS6_INS7_ISA_SB_Lm4ESD_iEESH_SB_Lm5ESD_iEEiiiiiiiii
; %bb.0:
	s_load_b128 s[4:7], s[0:1], 0x70
	s_and_b32 s8, ttmp6, 15
	s_getreg_b32 s9, hwreg(HW_REG_IB_STS2, 6, 4)
	s_load_b128 s[16:19], s[0:1], 0xc
	s_wait_kmcnt 0x0
	s_cvt_f32_u32 s2, s6
	s_delay_alu instid0(SALU_CYCLE_3) | instskip(SKIP_1) | instid1(SALU_CYCLE_1)
	v_rcp_iflag_f32_e32 v1, s2
	s_bfe_u32 s2, ttmp6, 0x4000c
	s_add_co_i32 s2, s2, 1
	s_delay_alu instid0(SALU_CYCLE_1) | instskip(SKIP_1) | instid1(TRANS32_DEP_1)
	s_mul_i32 s2, ttmp9, s2
	v_nop
	v_readfirstlane_b32 s3, v1
	s_add_co_i32 s8, s8, s2
	s_cmp_eq_u32 s9, 0
	s_cselect_b32 s2, ttmp9, s8
	s_mul_f32 s3, s3, 0x4f7ffffe
	s_cvt_f32_u32 s8, s5
	s_sub_co_i32 s9, 0, s6
	s_delay_alu instid0(SALU_CYCLE_1) | instskip(NEXT) | instid1(SALU_CYCLE_1)
	s_cvt_u32_f32 s3, s3
	v_rcp_iflag_f32_e32 v1, s8
	s_delay_alu instid0(SALU_CYCLE_2) | instskip(NEXT) | instid1(SALU_CYCLE_1)
	s_mul_i32 s9, s9, s3
	s_mul_hi_u32 s8, s3, s9
	s_delay_alu instid0(SALU_CYCLE_1) | instskip(SKIP_1) | instid1(TRANS32_DEP_1)
	s_add_co_i32 s3, s3, s8
	v_nop
	v_readfirstlane_b32 s10, v1
	s_mul_hi_u32 s3, s2, s3
	s_cvt_f32_u32 s8, s4
	s_mul_i32 s9, s3, s6
	s_add_co_i32 s11, s3, 1
	s_sub_co_i32 s9, s2, s9
	s_mul_f32 s10, s10, 0x4f7ffffe
	s_sub_co_i32 s12, s9, s6
	s_cmp_ge_u32 s9, s6
	v_rcp_iflag_f32_e32 v1, s8
	s_cselect_b32 s3, s11, s3
	s_cselect_b32 s9, s12, s9
	s_add_co_i32 s11, s3, 1
	s_cmp_ge_u32 s9, s6
	s_cvt_u32_f32 s9, s10
	s_cselect_b32 s20, s11, s3
	s_sub_co_i32 s3, 0, s5
	s_load_b128 s[12:15], s[0:1], 0x3c
	s_mul_i32 s3, s3, s9
	s_delay_alu instid0(SALU_CYCLE_1) | instskip(NEXT) | instid1(SALU_CYCLE_1)
	s_mul_hi_u32 s3, s9, s3
	s_add_co_i32 s9, s9, s3
	s_delay_alu instid0(SALU_CYCLE_1)
	s_mul_hi_u32 s3, s20, s9
	v_nop
	v_readfirstlane_b32 s9, v1
	s_mul_i32 s8, s3, s5
	s_add_co_i32 s10, s3, 1
	s_sub_co_i32 s8, s20, s8
	s_delay_alu instid0(SALU_CYCLE_1)
	s_sub_co_i32 s11, s8, s5
	s_cmp_ge_u32 s8, s5
	s_mul_f32 s9, s9, 0x4f7ffffe
	s_cselect_b32 s3, s10, s3
	s_cselect_b32 s8, s11, s8
	s_add_co_i32 s10, s3, 1
	s_cmp_ge_u32 s8, s5
	s_cvt_u32_f32 s8, s9
	s_cselect_b32 s21, s10, s3
	s_sub_co_i32 s3, 0, s4
	s_delay_alu instid0(SALU_CYCLE_1) | instskip(NEXT) | instid1(SALU_CYCLE_1)
	s_mul_i32 s3, s3, s8
	s_mul_hi_u32 s3, s8, s3
	s_delay_alu instid0(SALU_CYCLE_1) | instskip(NEXT) | instid1(SALU_CYCLE_1)
	s_add_co_i32 s8, s8, s3
	s_mul_hi_u32 s3, s21, s8
	s_delay_alu instid0(SALU_CYCLE_1) | instskip(SKIP_2) | instid1(SALU_CYCLE_1)
	s_mul_i32 s8, s3, s4
	s_add_co_i32 s9, s3, 1
	s_sub_co_i32 s8, s21, s8
	s_sub_co_i32 s10, s8, s4
	s_cmp_ge_u32 s8, s4
	s_cselect_b32 s3, s9, s3
	s_cselect_b32 s8, s10, s8
	s_add_co_i32 s9, s3, 1
	s_cmp_ge_u32 s8, s4
	s_cselect_b32 s27, s9, s3
	s_wait_kmcnt 0x0
	s_abs_i32 s3, s12
	s_abs_i32 s10, s16
	s_cvt_f32_u32 s8, s3
	s_sub_co_i32 s9, 0, s3
	s_delay_alu instid0(SALU_CYCLE_2) | instskip(SKIP_1) | instid1(TRANS32_DEP_1)
	v_rcp_iflag_f32_e32 v1, s8
	v_nop
	v_readfirstlane_b32 s8, v1
	s_mul_f32 s8, s8, 0x4f7ffffe
	s_delay_alu instid0(SALU_CYCLE_3) | instskip(NEXT) | instid1(SALU_CYCLE_3)
	s_cvt_u32_f32 s8, s8
	s_mul_i32 s9, s9, s8
	s_delay_alu instid0(SALU_CYCLE_1) | instskip(NEXT) | instid1(SALU_CYCLE_1)
	s_mul_hi_u32 s9, s8, s9
	s_add_co_i32 s8, s8, s9
	s_xor_b32 s9, s16, s12
	s_mul_hi_u32 s8, s10, s8
	s_ashr_i32 s9, s9, 31
	s_mul_i32 s11, s8, s3
	s_delay_alu instid0(SALU_CYCLE_1)
	s_sub_co_i32 s10, s10, s11
	s_add_co_i32 s11, s8, 1
	s_sub_co_i32 s12, s10, s3
	s_cmp_ge_u32 s10, s3
	s_cselect_b32 s8, s11, s8
	s_cselect_b32 s10, s12, s10
	s_add_co_i32 s11, s8, 1
	s_cmp_ge_u32 s10, s3
	s_cselect_b32 s3, s11, s8
	s_load_b32 s8, s[0:1], 0x68
	s_xor_b32 s3, s3, s9
	s_delay_alu instid0(SALU_CYCLE_1) | instskip(NEXT) | instid1(SALU_CYCLE_1)
	s_sub_co_i32 s23, s3, s9
	s_abs_i32 s22, s23
	s_delay_alu instid0(SALU_CYCLE_1) | instskip(NEXT) | instid1(SALU_CYCLE_3)
	s_cvt_f32_u32 s3, s22
	v_rcp_iflag_f32_e32 v1, s3
	s_mov_b32 s3, 0
	v_nop
	s_delay_alu instid0(TRANS32_DEP_1)
	v_readfirstlane_b32 s24, v1
	s_wait_kmcnt 0x0
	s_cmp_ge_i32 s27, s8
	s_cbranch_scc1 .LBB36_28
; %bb.1:
	s_load_b32 s37, s[0:1], 0x38
	s_add_nc_u64 s[28:29], s[0:1], 0x60
	s_load_b32 s25, s[0:1], 0xc4
	s_load_b128 s[8:11], s[28:29], 0x24
	v_dual_mov_b32 v10, 0 :: v_dual_lshrrev_b32 v1, 5, v0
	s_mul_i32 s6, s20, s6
	s_mul_i32 s5, s21, s5
	;; [unrolled: 1-line block ×3, first 2 shown]
	s_sub_co_i32 s12, s2, s6
	s_sub_co_i32 s16, s20, s5
	;; [unrolled: 1-line block ×3, first 2 shown]
	s_mov_b32 s38, exec_lo
	s_wait_kmcnt 0x0
	s_mul_i32 s37, s37, s17
	s_and_b32 s36, s25, 0xffff
	v_cmpx_gt_i32_e64 s37, v1
	s_cbranch_execz .LBB36_23
; %bb.2:
	s_mul_f32 s2, s24, 0x4f7ffffe
	s_ashr_i32 s6, s27, 31
	s_mov_b32 s39, 0
	v_mov_b32_e32 v10, 0
	s_cvt_u32_f32 s4, s2
	s_sub_co_i32 s2, 0, s22
	s_delay_alu instid0(SALU_CYCLE_2)
	s_mul_i32 s5, s2, s4
	s_abs_i32 s2, s27
	s_mul_hi_u32 s20, s4, s5
	s_mov_b32 s5, s3
	s_add_co_i32 s4, s4, s20
	s_ashr_i32 s20, s23, 31
	s_mul_u64 s[4:5], s[2:3], s[4:5]
	s_lshr_b32 s3, s36, 5
	s_mul_i32 s4, s5, s22
	s_xor_b32 s42, s6, s20
	s_sub_co_i32 s2, s2, s4
	s_add_co_i32 s4, s5, 1
	s_sub_co_i32 s6, s2, s22
	s_cmp_ge_u32 s2, s22
	s_cselect_b32 s4, s4, s5
	s_cselect_b32 s2, s6, s2
	s_add_co_i32 s5, s4, 1
	s_cmp_ge_u32 s2, s22
	s_clause 0x1
	s_load_b128 s[20:23], s[0:1], 0x9c
	s_load_b64 s[40:41], s[0:1], 0xac
	s_cselect_b32 s43, s5, s4
	s_abs_i32 s44, s17
	s_abs_i32 s45, s19
	s_cvt_f32_u32 s2, s44
	s_cvt_f32_u32 s4, s45
	s_sub_co_i32 s5, 0, s44
	s_sub_co_i32 s6, 0, s45
	v_rcp_iflag_f32_e32 v2, s2
	v_rcp_iflag_f32_e32 v3, s4
	s_delay_alu instid0(TRANS32_DEP_2) | instskip(NEXT) | instid1(TRANS32_DEP_1)
	v_readfirstlane_b32 s2, v2
	v_readfirstlane_b32 s4, v3
	s_wait_kmcnt 0x0
	s_mul_i32 s23, s33, s23
	s_mul_f32 s2, s2, 0x4f7ffffe
	s_mul_f32 s4, s4, 0x4f7ffffe
	s_delay_alu instid0(SALU_CYCLE_2) | instskip(NEXT) | instid1(SALU_CYCLE_2)
	s_cvt_u32_f32 s2, s2
	s_cvt_u32_f32 s4, s4
	s_delay_alu instid0(SALU_CYCLE_2) | instskip(NEXT) | instid1(SALU_CYCLE_2)
	s_mul_i32 s5, s5, s2
	s_mul_i32 s6, s6, s4
	s_mul_hi_u32 s5, s2, s5
	s_delay_alu instid0(SALU_CYCLE_1) | instskip(SKIP_4) | instid1(VALU_DEP_2)
	s_add_co_i32 s2, s2, s5
	s_mul_hi_u32 s5, s4, s6
	v_mul_hi_u32 v3, v1, s2
	v_and_b32_e32 v2, 31, v0
	s_add_co_i32 s4, s4, s5
	v_add_nc_u32_e32 v7, 1, v3
	s_delay_alu instid0(VALU_DEP_2)
	v_mul_hi_u32 v4, v2, s4
	v_mul_lo_u32 v5, v3, s44
	s_clause 0x3
	s_load_b64 s[30:31], s[0:1], 0x0
	s_load_b96 s[4:6], s[0:1], 0x1c
	s_load_b64 s[34:35], s[0:1], 0x30
	s_load_b96 s[24:26], s[0:1], 0x4c
	s_wait_xcnt 0x0
	s_ashr_i32 s1, s17, 31
	s_delay_alu instid0(VALU_DEP_2) | instskip(NEXT) | instid1(VALU_DEP_1)
	v_mul_lo_u32 v6, v4, s45
	v_dual_sub_nc_u32 v5, v1, v5 :: v_dual_sub_nc_u32 v6, v2, v6
	s_delay_alu instid0(VALU_DEP_1)
	v_cmp_le_u32_e32 vcc_lo, s44, v5
	v_add_nc_u32_e32 v8, 1, v4
	s_wait_kmcnt 0x0
	s_mul_i32 s0, s5, s27
	s_sub_co_i32 s5, s23, s20
	v_cmp_le_u32_e64 s2, s45, v6
	v_cndmask_b32_e32 v3, v3, v7, vcc_lo
	v_subrev_nc_u32_e32 v7, s44, v5
	v_subrev_nc_u32_e32 v9, s45, v6
	s_delay_alu instid0(VALU_DEP_2) | instskip(NEXT) | instid1(VALU_DEP_2)
	v_dual_cndmask_b32 v4, v4, v8, s2 :: v_dual_cndmask_b32 v5, v5, v7, vcc_lo
	v_dual_add_nc_u32 v7, 1, v3 :: v_dual_cndmask_b32 v6, v6, v9, s2
	s_ashr_i32 s2, s19, 31
	s_delay_alu instid0(VALU_DEP_2) | instskip(NEXT) | instid1(VALU_DEP_2)
	v_cmp_le_u32_e32 vcc_lo, s44, v5
	v_dual_cndmask_b32 v5, v3, v7 :: v_dual_add_nc_u32 v8, 1, v4
	s_delay_alu instid0(VALU_DEP_3) | instskip(NEXT) | instid1(VALU_DEP_2)
	v_cmp_le_u32_e32 vcc_lo, s45, v6
	v_dual_mov_b32 v3, 0 :: v_dual_bitop2_b32 v5, s1, v5 bitop3:0x14
	s_delay_alu instid0(VALU_DEP_3) | instskip(NEXT) | instid1(VALU_DEP_1)
	v_cndmask_b32_e32 v4, v4, v8, vcc_lo
	v_dual_lshlrev_b32 v4, 2, v2 :: v_dual_bitop2_b32 v6, s2, v4 bitop3:0x14
	s_delay_alu instid0(VALU_DEP_3) | instskip(SKIP_1) | instid1(SALU_CYCLE_1)
	v_subrev_nc_u32_e32 v11, s1, v5
	s_xor_b32 s1, s43, s42
	s_sub_co_i32 s1, s1, s42
	s_delay_alu instid0(VALU_DEP_1)
	v_mul_lo_u32 v5, v11, s17
	s_mul_i32 s42, s25, s1
	s_ashr_i32 s1, s0, 31
	s_ashr_i32 s43, s42, 31
	s_lshl_b64 s[0:1], s[0:1], 2
	s_lshl_b64 s[42:43], s[42:43], 2
	s_add_nc_u64 s[30:31], s[30:31], s[0:1]
	s_mul_i32 s0, s16, s40
	s_add_nc_u64 s[34:35], s[34:35], s[42:43]
	s_sub_co_i32 s21, s0, s21
	s_delay_alu instid0(VALU_DEP_1) | instskip(SKIP_2) | instid1(SALU_CYCLE_1)
	v_sub_nc_u32_e32 v13, v1, v5
	v_subrev_nc_u32_e32 v12, s2, v6
	s_mul_i32 s2, s12, s41
	s_sub_co_i32 s20, s2, s22
	s_delay_alu instid0(VALU_DEP_1) | instskip(SKIP_1) | instid1(VALU_DEP_2)
	v_mul_lo_u32 v6, v12, s19
	v_cmp_gt_i32_e32 vcc_lo, s18, v12
	v_sub_nc_u32_e32 v14, v2, v6
	s_branch .LBB36_6
.LBB36_3:                               ;   in Loop: Header=BB36_6 Depth=1
	s_or_b32 exec_lo, exec_lo, s25
.LBB36_4:                               ;   in Loop: Header=BB36_6 Depth=1
	s_delay_alu instid0(SALU_CYCLE_1)
	s_or_b32 exec_lo, exec_lo, s23
.LBB36_5:                               ;   in Loop: Header=BB36_6 Depth=1
	s_delay_alu instid0(SALU_CYCLE_1) | instskip(SKIP_2) | instid1(VALU_DEP_2)
	s_or_b32 exec_lo, exec_lo, s22
	v_add_nc_u32_e32 v1, s3, v1
	v_add_nc_u32_e32 v13, s3, v13
	v_cmp_le_i32_e64 s0, s37, v1
	s_or_b32 s39, s0, s39
	s_delay_alu instid0(SALU_CYCLE_1)
	s_and_not1_b32 exec_lo, exec_lo, s39
	s_cbranch_execz .LBB36_22
.LBB36_6:                               ; =>This Loop Header: Depth=1
                                        ;     Child Loop BB36_8 Depth 2
                                        ;     Child Loop BB36_14 Depth 2
                                        ;       Child Loop BB36_20 Depth 3
	s_mov_b32 s1, exec_lo
	v_cmpx_le_i32_e64 s17, v13
	s_cbranch_execz .LBB36_10
; %bb.7:                                ;   in Loop: Header=BB36_6 Depth=1
	s_mov_b32 s2, 0
.LBB36_8:                               ;   Parent Loop BB36_6 Depth=1
                                        ; =>  This Inner Loop Header: Depth=2
	v_subrev_nc_u32_e32 v13, s17, v13
	v_add_nc_u32_e32 v11, 1, v11
	s_delay_alu instid0(VALU_DEP_2) | instskip(SKIP_1) | instid1(SALU_CYCLE_1)
	v_cmp_gt_i32_e64 s0, s17, v13
	s_or_b32 s2, s0, s2
	s_and_not1_b32 exec_lo, exec_lo, s2
	s_cbranch_execnz .LBB36_8
; %bb.9:                                ;   in Loop: Header=BB36_6 Depth=1
	s_or_b32 exec_lo, exec_lo, s2
.LBB36_10:                              ;   in Loop: Header=BB36_6 Depth=1
	s_delay_alu instid0(SALU_CYCLE_1) | instskip(SKIP_1) | instid1(VALU_DEP_1)
	s_or_b32 exec_lo, exec_lo, s1
	v_mad_u32 v2, v13, s11, s5
	v_cmp_lt_i32_e64 s0, -1, v2
	v_cmp_gt_i32_e64 s1, s13, v2
	s_and_b32 s0, s0, s1
	s_delay_alu instid0(SALU_CYCLE_1)
	s_and_saveexec_b32 s22, s0
	s_cbranch_execz .LBB36_5
; %bb.11:                               ;   in Loop: Header=BB36_6 Depth=1
	s_and_saveexec_b32 s23, vcc_lo
	s_cbranch_execz .LBB36_4
; %bb.12:                               ;   in Loop: Header=BB36_6 Depth=1
	v_mul_lo_u32 v6, s4, v11
	v_mul_lo_u32 v8, s24, v11
	;; [unrolled: 1-line block ×4, first 2 shown]
	v_dual_mov_b32 v5, v3 :: v_dual_mov_b32 v15, v12
	s_mov_b32 s25, 0
	s_delay_alu instid0(VALU_DEP_4) | instskip(NEXT) | instid1(VALU_DEP_3)
	v_dual_ashrrev_i32 v7, 31, v6 :: v_dual_ashrrev_i32 v9, 31, v8
	v_dual_ashrrev_i32 v17, 31, v16 :: v_dual_ashrrev_i32 v19, 31, v18
	s_delay_alu instid0(VALU_DEP_2) | instskip(NEXT) | instid1(VALU_DEP_3)
	v_lshl_add_u64 v[6:7], v[6:7], 2, s[30:31]
	v_lshl_add_u64 v[8:9], v[8:9], 2, s[34:35]
	s_delay_alu instid0(VALU_DEP_2) | instskip(NEXT) | instid1(VALU_DEP_2)
	v_lshl_add_u64 v[16:17], v[16:17], 2, v[6:7]
	v_lshl_add_u64 v[6:7], v[18:19], 2, v[8:9]
	s_delay_alu instid0(VALU_DEP_2)
	v_add_nc_u64_e32 v[8:9], v[16:17], v[4:5]
	v_mov_b32_e32 v5, v14
	s_branch .LBB36_14
.LBB36_13:                              ;   in Loop: Header=BB36_14 Depth=2
	s_or_b32 exec_lo, exec_lo, s1
	v_cmp_le_i32_e64 s0, s18, v15
	v_add_nc_u64_e32 v[8:9], 0x80, v[8:9]
	s_wait_loadcnt 0x0
	v_fmac_f32_e32 v10, v16, v2
	s_or_b32 s25, s0, s25
	s_delay_alu instid0(SALU_CYCLE_1)
	s_and_not1_b32 exec_lo, exec_lo, s25
	s_cbranch_execz .LBB36_3
.LBB36_14:                              ;   Parent Loop BB36_6 Depth=1
                                        ; =>  This Loop Header: Depth=2
                                        ;       Child Loop BB36_20 Depth 3
	global_load_b32 v16, v[8:9], off
	v_lshl_add_u32 v17, v5, 1, s20
	v_mov_b32_e32 v2, 0
	s_mov_b32 s40, exec_lo
	s_wait_xcnt 0x0
	s_delay_alu instid0(VALU_DEP_2)
	v_cmpx_lt_i32_e32 -1, v17
	s_cbranch_execz .LBB36_18
; %bb.15:                               ;   in Loop: Header=BB36_14 Depth=2
	v_lshl_add_u32 v18, v15, 1, s21
	v_cmp_gt_i32_e64 s0, s15, v17
	v_mov_b32_e32 v2, 0
	s_delay_alu instid0(VALU_DEP_3) | instskip(SKIP_2) | instid1(SALU_CYCLE_1)
	v_cmp_gt_i32_e64 s1, s14, v18
	v_cmp_lt_i32_e64 s2, -1, v18
	s_and_b32 s0, s0, s1
	s_and_b32 s1, s0, s2
	s_delay_alu instid0(SALU_CYCLE_1)
	s_and_saveexec_b32 s0, s1
	s_cbranch_execz .LBB36_17
; %bb.16:                               ;   in Loop: Header=BB36_14 Depth=2
	v_mad_u32 v2, v18, s15, v17
	s_delay_alu instid0(VALU_DEP_1)
	v_lshl_add_u64 v[18:19], v[2:3], 2, v[6:7]
	global_load_b32 v2, v[18:19], off
.LBB36_17:                              ;   in Loop: Header=BB36_14 Depth=2
	s_wait_xcnt 0x0
	s_or_b32 exec_lo, exec_lo, s0
.LBB36_18:                              ;   in Loop: Header=BB36_14 Depth=2
	s_delay_alu instid0(SALU_CYCLE_1) | instskip(SKIP_2) | instid1(VALU_DEP_1)
	s_or_b32 exec_lo, exec_lo, s40
	v_add_nc_u32_e32 v5, 32, v5
	s_mov_b32 s1, exec_lo
	v_cmpx_le_i32_e64 s19, v5
	s_cbranch_execz .LBB36_13
; %bb.19:                               ;   in Loop: Header=BB36_14 Depth=2
	s_mov_b32 s2, 0
.LBB36_20:                              ;   Parent Loop BB36_6 Depth=1
                                        ;     Parent Loop BB36_14 Depth=2
                                        ; =>    This Inner Loop Header: Depth=3
	v_subrev_nc_u32_e32 v5, s19, v5
	v_add_nc_u32_e32 v15, 1, v15
	s_delay_alu instid0(VALU_DEP_2) | instskip(SKIP_1) | instid1(SALU_CYCLE_1)
	v_cmp_gt_i32_e64 s0, s19, v5
	s_or_b32 s2, s0, s2
	s_and_not1_b32 exec_lo, exec_lo, s2
	s_cbranch_execnz .LBB36_20
; %bb.21:                               ;   in Loop: Header=BB36_14 Depth=2
	s_or_b32 exec_lo, exec_lo, s2
	s_branch .LBB36_13
.LBB36_22:
	s_or_b32 exec_lo, exec_lo, s39
.LBB36_23:
	s_delay_alu instid0(SALU_CYCLE_1) | instskip(SKIP_3) | instid1(SALU_CYCLE_1)
	s_or_b32 exec_lo, exec_lo, s38
	s_load_b64 s[0:1], s[28:29], 0x0
	v_lshl_add_u32 v1, v0, 2, 0
	s_bcnt1_i32_b32 s2, s36
	s_cmp_lg_u32 s2, 1
	s_mov_b32 s2, -1
	ds_store_b32 v1, v10
	s_wait_dscnt 0x0
	s_barrier_signal -1
	s_barrier_wait -1
	s_cbranch_scc1 .LBB36_32
; %bb.24:
	s_and_not1_b32 vcc_lo, exec_lo, s2
	s_cbranch_vccnz .LBB36_28
.LBB36_25:
	s_cmp_lt_u32 s36, 2
	s_cbranch_scc0 .LBB36_30
.LBB36_26:
	s_mov_b32 s2, exec_lo
	v_cmpx_eq_u32_e32 0, v0
	s_cbranch_execz .LBB36_28
; %bb.27:
	s_mul_i32 s2, s7, s27
	s_mul_i32 s4, s8, s33
	s_ashr_i32 s3, s2, 31
	s_ashr_i32 s5, s4, 31
	s_lshl_b64 s[2:3], s[2:3], 2
	s_wait_kmcnt 0x0
	s_add_nc_u64 s[0:1], s[0:1], s[2:3]
	s_lshl_b64 s[2:3], s[4:5], 2
	s_mul_i32 s4, s10, s12
	s_delay_alu instid0(SALU_CYCLE_1) | instskip(SKIP_4) | instid1(SALU_CYCLE_1)
	v_dual_mov_b32 v0, 0 :: v_dual_mov_b32 v1, s4
	s_add_nc_u64 s[0:1], s[0:1], s[2:3]
	s_mul_i32 s2, s9, s16
	ds_load_b32 v0, v0
	s_ashr_i32 s3, s2, 31
	s_lshl_b64 s[2:3], s[2:3], 2
	s_delay_alu instid0(SALU_CYCLE_1)
	s_add_nc_u64 s[0:1], s[0:1], s[2:3]
	s_wait_dscnt 0x0
	global_store_b32 v1, v0, s[0:1] scale_offset
.LBB36_28:
	s_endpgm
.LBB36_29:                              ;   in Loop: Header=BB36_30 Depth=1
	s_or_b32 exec_lo, exec_lo, s3
	s_cmp_lt_u32 s36, 4
	s_mov_b32 s36, s2
	s_wait_dscnt 0x0
	s_barrier_signal -1
	s_barrier_wait -1
	s_cbranch_scc1 .LBB36_26
.LBB36_30:                              ; =>This Inner Loop Header: Depth=1
	s_lshr_b32 s2, s36, 1
	s_mov_b32 s3, exec_lo
	v_cmpx_gt_u32_e64 s2, v0
	s_cbranch_execz .LBB36_29
; %bb.31:                               ;   in Loop: Header=BB36_30 Depth=1
	v_lshl_add_u32 v2, s2, 2, v1
	ds_load_b32 v2, v2
	ds_load_b32 v3, v1
	s_wait_dscnt 0x0
	v_add_f32_e32 v2, v2, v3
	ds_store_b32 v1, v2
	s_branch .LBB36_29
.LBB36_32:
	s_trap 2
	; divergent unreachable
	s_cbranch_execz .LBB36_25
	s_branch .LBB36_28
	.section	.rodata,"a",@progbits
	.p2align	6, 0x0
	.amdhsa_kernel _ZN2at6native12_GLOBAL__N_144conv_depthwise3d_cuda_backward_weight_kernelIffLi2ELi2EEEvN5torch10headeronly6detail27GenericPackedTensorAccessorINS5_14TensorAccessorIN3c108ArrayRefIlEEKT_Lm4ENS4_16DefaultPtrTraitsEiEENS_6detail16IndexBoundsCheckILm5EiEESC_Lm5ESD_iEESI_NS6_INS7_ISA_SB_Lm4ESD_iEESH_SB_Lm5ESD_iEEiiiiiiiii
		.amdhsa_group_segment_fixed_size 0
		.amdhsa_private_segment_fixed_size 0
		.amdhsa_kernarg_size 440
		.amdhsa_user_sgpr_count 2
		.amdhsa_user_sgpr_dispatch_ptr 0
		.amdhsa_user_sgpr_queue_ptr 0
		.amdhsa_user_sgpr_kernarg_segment_ptr 1
		.amdhsa_user_sgpr_dispatch_id 0
		.amdhsa_user_sgpr_kernarg_preload_length 0
		.amdhsa_user_sgpr_kernarg_preload_offset 0
		.amdhsa_user_sgpr_private_segment_size 0
		.amdhsa_wavefront_size32 1
		.amdhsa_uses_dynamic_stack 0
		.amdhsa_enable_private_segment 0
		.amdhsa_system_sgpr_workgroup_id_x 1
		.amdhsa_system_sgpr_workgroup_id_y 0
		.amdhsa_system_sgpr_workgroup_id_z 0
		.amdhsa_system_sgpr_workgroup_info 0
		.amdhsa_system_vgpr_workitem_id 0
		.amdhsa_next_free_vgpr 20
		.amdhsa_next_free_sgpr 46
		.amdhsa_named_barrier_count 0
		.amdhsa_reserve_vcc 1
		.amdhsa_float_round_mode_32 0
		.amdhsa_float_round_mode_16_64 0
		.amdhsa_float_denorm_mode_32 3
		.amdhsa_float_denorm_mode_16_64 3
		.amdhsa_fp16_overflow 0
		.amdhsa_memory_ordered 1
		.amdhsa_forward_progress 1
		.amdhsa_inst_pref_size 17
		.amdhsa_round_robin_scheduling 0
		.amdhsa_exception_fp_ieee_invalid_op 0
		.amdhsa_exception_fp_denorm_src 0
		.amdhsa_exception_fp_ieee_div_zero 0
		.amdhsa_exception_fp_ieee_overflow 0
		.amdhsa_exception_fp_ieee_underflow 0
		.amdhsa_exception_fp_ieee_inexact 0
		.amdhsa_exception_int_div_zero 0
	.end_amdhsa_kernel
	.section	.text._ZN2at6native12_GLOBAL__N_144conv_depthwise3d_cuda_backward_weight_kernelIffLi2ELi2EEEvN5torch10headeronly6detail27GenericPackedTensorAccessorINS5_14TensorAccessorIN3c108ArrayRefIlEEKT_Lm4ENS4_16DefaultPtrTraitsEiEENS_6detail16IndexBoundsCheckILm5EiEESC_Lm5ESD_iEESI_NS6_INS7_ISA_SB_Lm4ESD_iEESH_SB_Lm5ESD_iEEiiiiiiiii,"axG",@progbits,_ZN2at6native12_GLOBAL__N_144conv_depthwise3d_cuda_backward_weight_kernelIffLi2ELi2EEEvN5torch10headeronly6detail27GenericPackedTensorAccessorINS5_14TensorAccessorIN3c108ArrayRefIlEEKT_Lm4ENS4_16DefaultPtrTraitsEiEENS_6detail16IndexBoundsCheckILm5EiEESC_Lm5ESD_iEESI_NS6_INS7_ISA_SB_Lm4ESD_iEESH_SB_Lm5ESD_iEEiiiiiiiii,comdat
.Lfunc_end36:
	.size	_ZN2at6native12_GLOBAL__N_144conv_depthwise3d_cuda_backward_weight_kernelIffLi2ELi2EEEvN5torch10headeronly6detail27GenericPackedTensorAccessorINS5_14TensorAccessorIN3c108ArrayRefIlEEKT_Lm4ENS4_16DefaultPtrTraitsEiEENS_6detail16IndexBoundsCheckILm5EiEESC_Lm5ESD_iEESI_NS6_INS7_ISA_SB_Lm4ESD_iEESH_SB_Lm5ESD_iEEiiiiiiiii, .Lfunc_end36-_ZN2at6native12_GLOBAL__N_144conv_depthwise3d_cuda_backward_weight_kernelIffLi2ELi2EEEvN5torch10headeronly6detail27GenericPackedTensorAccessorINS5_14TensorAccessorIN3c108ArrayRefIlEEKT_Lm4ENS4_16DefaultPtrTraitsEiEENS_6detail16IndexBoundsCheckILm5EiEESC_Lm5ESD_iEESI_NS6_INS7_ISA_SB_Lm4ESD_iEESH_SB_Lm5ESD_iEEiiiiiiiii
                                        ; -- End function
	.set _ZN2at6native12_GLOBAL__N_144conv_depthwise3d_cuda_backward_weight_kernelIffLi2ELi2EEEvN5torch10headeronly6detail27GenericPackedTensorAccessorINS5_14TensorAccessorIN3c108ArrayRefIlEEKT_Lm4ENS4_16DefaultPtrTraitsEiEENS_6detail16IndexBoundsCheckILm5EiEESC_Lm5ESD_iEESI_NS6_INS7_ISA_SB_Lm4ESD_iEESH_SB_Lm5ESD_iEEiiiiiiiii.num_vgpr, 20
	.set _ZN2at6native12_GLOBAL__N_144conv_depthwise3d_cuda_backward_weight_kernelIffLi2ELi2EEEvN5torch10headeronly6detail27GenericPackedTensorAccessorINS5_14TensorAccessorIN3c108ArrayRefIlEEKT_Lm4ENS4_16DefaultPtrTraitsEiEENS_6detail16IndexBoundsCheckILm5EiEESC_Lm5ESD_iEESI_NS6_INS7_ISA_SB_Lm4ESD_iEESH_SB_Lm5ESD_iEEiiiiiiiii.num_agpr, 0
	.set _ZN2at6native12_GLOBAL__N_144conv_depthwise3d_cuda_backward_weight_kernelIffLi2ELi2EEEvN5torch10headeronly6detail27GenericPackedTensorAccessorINS5_14TensorAccessorIN3c108ArrayRefIlEEKT_Lm4ENS4_16DefaultPtrTraitsEiEENS_6detail16IndexBoundsCheckILm5EiEESC_Lm5ESD_iEESI_NS6_INS7_ISA_SB_Lm4ESD_iEESH_SB_Lm5ESD_iEEiiiiiiiii.numbered_sgpr, 46
	.set _ZN2at6native12_GLOBAL__N_144conv_depthwise3d_cuda_backward_weight_kernelIffLi2ELi2EEEvN5torch10headeronly6detail27GenericPackedTensorAccessorINS5_14TensorAccessorIN3c108ArrayRefIlEEKT_Lm4ENS4_16DefaultPtrTraitsEiEENS_6detail16IndexBoundsCheckILm5EiEESC_Lm5ESD_iEESI_NS6_INS7_ISA_SB_Lm4ESD_iEESH_SB_Lm5ESD_iEEiiiiiiiii.num_named_barrier, 0
	.set _ZN2at6native12_GLOBAL__N_144conv_depthwise3d_cuda_backward_weight_kernelIffLi2ELi2EEEvN5torch10headeronly6detail27GenericPackedTensorAccessorINS5_14TensorAccessorIN3c108ArrayRefIlEEKT_Lm4ENS4_16DefaultPtrTraitsEiEENS_6detail16IndexBoundsCheckILm5EiEESC_Lm5ESD_iEESI_NS6_INS7_ISA_SB_Lm4ESD_iEESH_SB_Lm5ESD_iEEiiiiiiiii.private_seg_size, 0
	.set _ZN2at6native12_GLOBAL__N_144conv_depthwise3d_cuda_backward_weight_kernelIffLi2ELi2EEEvN5torch10headeronly6detail27GenericPackedTensorAccessorINS5_14TensorAccessorIN3c108ArrayRefIlEEKT_Lm4ENS4_16DefaultPtrTraitsEiEENS_6detail16IndexBoundsCheckILm5EiEESC_Lm5ESD_iEESI_NS6_INS7_ISA_SB_Lm4ESD_iEESH_SB_Lm5ESD_iEEiiiiiiiii.uses_vcc, 1
	.set _ZN2at6native12_GLOBAL__N_144conv_depthwise3d_cuda_backward_weight_kernelIffLi2ELi2EEEvN5torch10headeronly6detail27GenericPackedTensorAccessorINS5_14TensorAccessorIN3c108ArrayRefIlEEKT_Lm4ENS4_16DefaultPtrTraitsEiEENS_6detail16IndexBoundsCheckILm5EiEESC_Lm5ESD_iEESI_NS6_INS7_ISA_SB_Lm4ESD_iEESH_SB_Lm5ESD_iEEiiiiiiiii.uses_flat_scratch, 0
	.set _ZN2at6native12_GLOBAL__N_144conv_depthwise3d_cuda_backward_weight_kernelIffLi2ELi2EEEvN5torch10headeronly6detail27GenericPackedTensorAccessorINS5_14TensorAccessorIN3c108ArrayRefIlEEKT_Lm4ENS4_16DefaultPtrTraitsEiEENS_6detail16IndexBoundsCheckILm5EiEESC_Lm5ESD_iEESI_NS6_INS7_ISA_SB_Lm4ESD_iEESH_SB_Lm5ESD_iEEiiiiiiiii.has_dyn_sized_stack, 0
	.set _ZN2at6native12_GLOBAL__N_144conv_depthwise3d_cuda_backward_weight_kernelIffLi2ELi2EEEvN5torch10headeronly6detail27GenericPackedTensorAccessorINS5_14TensorAccessorIN3c108ArrayRefIlEEKT_Lm4ENS4_16DefaultPtrTraitsEiEENS_6detail16IndexBoundsCheckILm5EiEESC_Lm5ESD_iEESI_NS6_INS7_ISA_SB_Lm4ESD_iEESH_SB_Lm5ESD_iEEiiiiiiiii.has_recursion, 0
	.set _ZN2at6native12_GLOBAL__N_144conv_depthwise3d_cuda_backward_weight_kernelIffLi2ELi2EEEvN5torch10headeronly6detail27GenericPackedTensorAccessorINS5_14TensorAccessorIN3c108ArrayRefIlEEKT_Lm4ENS4_16DefaultPtrTraitsEiEENS_6detail16IndexBoundsCheckILm5EiEESC_Lm5ESD_iEESI_NS6_INS7_ISA_SB_Lm4ESD_iEESH_SB_Lm5ESD_iEEiiiiiiiii.has_indirect_call, 0
	.section	.AMDGPU.csdata,"",@progbits
; Kernel info:
; codeLenInByte = 2092
; TotalNumSgprs: 48
; NumVgprs: 20
; ScratchSize: 0
; MemoryBound: 0
; FloatMode: 240
; IeeeMode: 1
; LDSByteSize: 0 bytes/workgroup (compile time only)
; SGPRBlocks: 0
; VGPRBlocks: 1
; NumSGPRsForWavesPerEU: 48
; NumVGPRsForWavesPerEU: 20
; NamedBarCnt: 0
; Occupancy: 16
; WaveLimiterHint : 1
; COMPUTE_PGM_RSRC2:SCRATCH_EN: 0
; COMPUTE_PGM_RSRC2:USER_SGPR: 2
; COMPUTE_PGM_RSRC2:TRAP_HANDLER: 0
; COMPUTE_PGM_RSRC2:TGID_X_EN: 1
; COMPUTE_PGM_RSRC2:TGID_Y_EN: 0
; COMPUTE_PGM_RSRC2:TGID_Z_EN: 0
; COMPUTE_PGM_RSRC2:TIDIG_COMP_CNT: 0
	.section	.text._ZN2at6native12_GLOBAL__N_144conv_depthwise3d_cuda_backward_weight_kernelIffLin1ELin1EEEvN5torch10headeronly6detail27GenericPackedTensorAccessorINS5_14TensorAccessorIN3c108ArrayRefIlEEKT_Lm4ENS4_16DefaultPtrTraitsEiEENS_6detail16IndexBoundsCheckILm5EiEESC_Lm5ESD_iEESI_NS6_INS7_ISA_SB_Lm4ESD_iEESH_SB_Lm5ESD_iEEiiiiiiiii,"axG",@progbits,_ZN2at6native12_GLOBAL__N_144conv_depthwise3d_cuda_backward_weight_kernelIffLin1ELin1EEEvN5torch10headeronly6detail27GenericPackedTensorAccessorINS5_14TensorAccessorIN3c108ArrayRefIlEEKT_Lm4ENS4_16DefaultPtrTraitsEiEENS_6detail16IndexBoundsCheckILm5EiEESC_Lm5ESD_iEESI_NS6_INS7_ISA_SB_Lm4ESD_iEESH_SB_Lm5ESD_iEEiiiiiiiii,comdat
	.globl	_ZN2at6native12_GLOBAL__N_144conv_depthwise3d_cuda_backward_weight_kernelIffLin1ELin1EEEvN5torch10headeronly6detail27GenericPackedTensorAccessorINS5_14TensorAccessorIN3c108ArrayRefIlEEKT_Lm4ENS4_16DefaultPtrTraitsEiEENS_6detail16IndexBoundsCheckILm5EiEESC_Lm5ESD_iEESI_NS6_INS7_ISA_SB_Lm4ESD_iEESH_SB_Lm5ESD_iEEiiiiiiiii ; -- Begin function _ZN2at6native12_GLOBAL__N_144conv_depthwise3d_cuda_backward_weight_kernelIffLin1ELin1EEEvN5torch10headeronly6detail27GenericPackedTensorAccessorINS5_14TensorAccessorIN3c108ArrayRefIlEEKT_Lm4ENS4_16DefaultPtrTraitsEiEENS_6detail16IndexBoundsCheckILm5EiEESC_Lm5ESD_iEESI_NS6_INS7_ISA_SB_Lm4ESD_iEESH_SB_Lm5ESD_iEEiiiiiiiii
	.p2align	8
	.type	_ZN2at6native12_GLOBAL__N_144conv_depthwise3d_cuda_backward_weight_kernelIffLin1ELin1EEEvN5torch10headeronly6detail27GenericPackedTensorAccessorINS5_14TensorAccessorIN3c108ArrayRefIlEEKT_Lm4ENS4_16DefaultPtrTraitsEiEENS_6detail16IndexBoundsCheckILm5EiEESC_Lm5ESD_iEESI_NS6_INS7_ISA_SB_Lm4ESD_iEESH_SB_Lm5ESD_iEEiiiiiiiii,@function
_ZN2at6native12_GLOBAL__N_144conv_depthwise3d_cuda_backward_weight_kernelIffLin1ELin1EEEvN5torch10headeronly6detail27GenericPackedTensorAccessorINS5_14TensorAccessorIN3c108ArrayRefIlEEKT_Lm4ENS4_16DefaultPtrTraitsEiEENS_6detail16IndexBoundsCheckILm5EiEESC_Lm5ESD_iEESI_NS6_INS7_ISA_SB_Lm4ESD_iEESH_SB_Lm5ESD_iEEiiiiiiiii: ; @_ZN2at6native12_GLOBAL__N_144conv_depthwise3d_cuda_backward_weight_kernelIffLin1ELin1EEEvN5torch10headeronly6detail27GenericPackedTensorAccessorINS5_14TensorAccessorIN3c108ArrayRefIlEEKT_Lm4ENS4_16DefaultPtrTraitsEiEENS_6detail16IndexBoundsCheckILm5EiEESC_Lm5ESD_iEESI_NS6_INS7_ISA_SB_Lm4ESD_iEESH_SB_Lm5ESD_iEEiiiiiiiii
; %bb.0:
	s_load_b128 s[12:15], s[0:1], 0x70
	s_and_b32 s4, ttmp6, 15
	s_getreg_b32 s5, hwreg(HW_REG_IB_STS2, 6, 4)
	s_clause 0x1
	s_load_b128 s[16:19], s[0:1], 0x3c
	s_load_b128 s[20:23], s[0:1], 0xc
	s_wait_kmcnt 0x0
	s_cvt_f32_u32 s2, s14
	s_delay_alu instid0(SALU_CYCLE_3) | instskip(SKIP_1) | instid1(SALU_CYCLE_1)
	v_rcp_iflag_f32_e32 v1, s2
	s_bfe_u32 s2, ttmp6, 0x4000c
	s_add_co_i32 s2, s2, 1
	s_delay_alu instid0(SALU_CYCLE_1) | instskip(NEXT) | instid1(SALU_CYCLE_1)
	s_mul_i32 s2, ttmp9, s2
	s_add_co_i32 s4, s4, s2
	v_nop
	s_delay_alu instid0(TRANS32_DEP_1)
	v_readfirstlane_b32 s3, v1
	s_cmp_eq_u32 s5, 0
	s_cselect_b32 s2, ttmp9, s4
	s_cvt_f32_u32 s4, s13
	s_mul_f32 s3, s3, 0x4f7ffffe
	s_sub_co_i32 s5, 0, s14
	s_delay_alu instid0(SALU_CYCLE_1) | instskip(NEXT) | instid1(SALU_CYCLE_1)
	v_rcp_iflag_f32_e32 v1, s4
	s_cvt_u32_f32 s3, s3
	s_delay_alu instid0(SALU_CYCLE_3) | instskip(NEXT) | instid1(SALU_CYCLE_1)
	s_mul_i32 s5, s5, s3
	s_mul_hi_u32 s4, s3, s5
	v_nop
	s_delay_alu instid0(TRANS32_DEP_1) | instskip(SKIP_3) | instid1(SALU_CYCLE_1)
	v_readfirstlane_b32 s6, v1
	s_add_co_i32 s3, s3, s4
	s_cvt_f32_u32 s4, s12
	s_mul_hi_u32 s3, s2, s3
	s_mul_i32 s5, s3, s14
	s_add_co_i32 s7, s3, 1
	s_sub_co_i32 s5, s2, s5
	s_mul_f32 s6, s6, 0x4f7ffffe
	s_sub_co_i32 s8, s5, s14
	s_cmp_ge_u32 s5, s14
	v_rcp_iflag_f32_e32 v1, s4
	s_cselect_b32 s3, s7, s3
	s_cselect_b32 s5, s8, s5
	s_add_co_i32 s7, s3, 1
	s_cmp_ge_u32 s5, s14
	s_cvt_u32_f32 s5, s6
	s_cselect_b32 s28, s7, s3
	s_sub_co_i32 s3, 0, s13
	s_delay_alu instid0(SALU_CYCLE_1) | instskip(NEXT) | instid1(SALU_CYCLE_1)
	s_mul_i32 s3, s3, s5
	s_mul_hi_u32 s3, s5, s3
	s_delay_alu instid0(SALU_CYCLE_1) | instskip(NEXT) | instid1(SALU_CYCLE_1)
	s_add_co_i32 s5, s5, s3
	s_mul_hi_u32 s3, s28, s5
	v_nop
	v_readfirstlane_b32 s5, v1
	s_mul_i32 s4, s3, s13
	s_add_co_i32 s6, s3, 1
	s_sub_co_i32 s4, s28, s4
	s_delay_alu instid0(SALU_CYCLE_1)
	s_sub_co_i32 s7, s4, s13
	s_cmp_ge_u32 s4, s13
	s_mul_f32 s5, s5, 0x4f7ffffe
	s_cselect_b32 s3, s6, s3
	s_cselect_b32 s4, s7, s4
	s_add_co_i32 s6, s3, 1
	s_cmp_ge_u32 s4, s13
	s_cvt_u32_f32 s4, s5
	s_cselect_b32 s29, s6, s3
	s_sub_co_i32 s3, 0, s12
	s_delay_alu instid0(SALU_CYCLE_1) | instskip(NEXT) | instid1(SALU_CYCLE_1)
	s_mul_i32 s3, s3, s4
	s_mul_hi_u32 s3, s4, s3
	s_delay_alu instid0(SALU_CYCLE_1) | instskip(NEXT) | instid1(SALU_CYCLE_1)
	s_add_co_i32 s4, s4, s3
	s_mul_hi_u32 s3, s29, s4
	s_delay_alu instid0(SALU_CYCLE_1) | instskip(SKIP_2) | instid1(SALU_CYCLE_1)
	s_mul_i32 s4, s3, s12
	s_add_co_i32 s5, s3, 1
	s_sub_co_i32 s4, s29, s4
	s_sub_co_i32 s6, s4, s12
	s_cmp_ge_u32 s4, s12
	s_cselect_b32 s3, s5, s3
	s_cselect_b32 s4, s6, s4
	s_add_co_i32 s5, s3, 1
	s_cmp_ge_u32 s4, s12
	s_cselect_b32 s31, s5, s3
	s_abs_i32 s3, s16
	s_abs_i32 s6, s20
	s_cvt_f32_u32 s4, s3
	s_sub_co_i32 s5, 0, s3
	s_delay_alu instid0(SALU_CYCLE_2) | instskip(SKIP_1) | instid1(TRANS32_DEP_1)
	v_rcp_iflag_f32_e32 v1, s4
	v_nop
	v_readfirstlane_b32 s4, v1
	s_mul_f32 s4, s4, 0x4f7ffffe
	s_delay_alu instid0(SALU_CYCLE_3) | instskip(NEXT) | instid1(SALU_CYCLE_3)
	s_cvt_u32_f32 s4, s4
	s_mul_i32 s5, s5, s4
	s_delay_alu instid0(SALU_CYCLE_1) | instskip(NEXT) | instid1(SALU_CYCLE_1)
	s_mul_hi_u32 s5, s4, s5
	s_add_co_i32 s4, s4, s5
	s_xor_b32 s5, s20, s16
	s_mul_hi_u32 s4, s6, s4
	s_ashr_i32 s5, s5, 31
	s_mul_i32 s7, s4, s3
	s_delay_alu instid0(SALU_CYCLE_1)
	s_sub_co_i32 s6, s6, s7
	s_add_co_i32 s7, s4, 1
	s_sub_co_i32 s8, s6, s3
	s_cmp_ge_u32 s6, s3
	s_cselect_b32 s4, s7, s4
	s_cselect_b32 s6, s8, s6
	s_add_co_i32 s7, s4, 1
	s_cmp_ge_u32 s6, s3
	s_cselect_b32 s3, s7, s4
	s_load_b32 s4, s[0:1], 0x68
	s_xor_b32 s3, s3, s5
	s_delay_alu instid0(SALU_CYCLE_1) | instskip(NEXT) | instid1(SALU_CYCLE_1)
	s_sub_co_i32 s36, s3, s5
	s_abs_i32 s30, s36
	s_delay_alu instid0(SALU_CYCLE_1) | instskip(NEXT) | instid1(SALU_CYCLE_3)
	s_cvt_f32_u32 s3, s30
	v_rcp_iflag_f32_e32 v1, s3
	s_mov_b32 s3, 0
	v_nop
	s_delay_alu instid0(TRANS32_DEP_1)
	v_readfirstlane_b32 s37, v1
	s_wait_kmcnt 0x0
	s_cmp_ge_i32 s31, s4
	s_cbranch_scc1 .LBB37_28
; %bb.1:
	s_load_b32 s41, s[0:1], 0x38
	s_add_nc_u64 s[34:35], s[0:1], 0x60
	s_load_b32 s38, s[0:1], 0xc4
	s_clause 0x1
	s_load_b128 s[24:27], s[34:35], 0x44
	s_load_b256 s[4:11], s[34:35], 0x24
	v_dual_mov_b32 v10, 0 :: v_dual_lshrrev_b32 v1, 5, v0
	s_mul_i32 s14, s28, s14
	s_mul_i32 s13, s29, s13
	;; [unrolled: 1-line block ×3, first 2 shown]
	s_sub_co_i32 s16, s2, s14
	s_sub_co_i32 s20, s28, s13
	;; [unrolled: 1-line block ×3, first 2 shown]
	s_mov_b32 s42, exec_lo
	s_wait_kmcnt 0x0
	s_and_b32 s40, s38, 0xffff
	s_mul_i32 s41, s41, s21
	s_delay_alu instid0(SALU_CYCLE_1)
	v_cmpx_gt_i32_e64 s41, v1
	s_cbranch_execz .LBB37_23
; %bb.2:
	s_mul_f32 s2, s37, 0x4f7ffffe
	s_ashr_i32 s14, s31, 31
	s_mov_b32 s43, 0
	v_mov_b32_e32 v10, 0
	s_cvt_u32_f32 s12, s2
	s_sub_co_i32 s2, 0, s30
	s_delay_alu instid0(SALU_CYCLE_2)
	s_mul_i32 s13, s2, s12
	s_abs_i32 s2, s31
	s_mul_hi_u32 s28, s12, s13
	s_mov_b32 s13, s3
	s_add_co_i32 s12, s12, s28
	s_ashr_i32 s28, s36, 31
	s_mul_u64 s[12:13], s[2:3], s[12:13]
	s_lshr_b32 s3, s40, 5
	s_mul_i32 s12, s13, s30
	s_xor_b32 s44, s14, s28
	s_sub_co_i32 s2, s2, s12
	s_add_co_i32 s12, s13, 1
	s_sub_co_i32 s14, s2, s30
	s_cmp_ge_u32 s2, s30
	s_cselect_b32 s12, s12, s13
	s_cselect_b32 s2, s14, s2
	s_add_co_i32 s13, s12, 1
	s_cmp_ge_u32 s2, s30
	s_cselect_b32 s45, s13, s12
	s_abs_i32 s46, s21
	s_abs_i32 s47, s23
	s_cvt_f32_u32 s2, s46
	s_cvt_f32_u32 s12, s47
	s_sub_co_i32 s13, 0, s46
	s_sub_co_i32 s14, 0, s47
	v_rcp_iflag_f32_e32 v2, s2
	v_rcp_iflag_f32_e32 v3, s12
	s_delay_alu instid0(TRANS32_DEP_2) | instskip(NEXT) | instid1(TRANS32_DEP_1)
	v_readfirstlane_b32 s2, v2
	v_readfirstlane_b32 s12, v3
	s_mul_f32 s2, s2, 0x4f7ffffe
	s_mul_f32 s12, s12, 0x4f7ffffe
	s_delay_alu instid0(SALU_CYCLE_2) | instskip(NEXT) | instid1(SALU_CYCLE_2)
	s_cvt_u32_f32 s2, s2
	s_cvt_u32_f32 s12, s12
	s_delay_alu instid0(SALU_CYCLE_2) | instskip(NEXT) | instid1(SALU_CYCLE_2)
	s_mul_i32 s13, s13, s2
	s_mul_i32 s14, s14, s12
	s_mul_hi_u32 s13, s2, s13
	s_delay_alu instid0(SALU_CYCLE_1) | instskip(SKIP_3) | instid1(VALU_DEP_1)
	s_add_co_i32 s2, s2, s13
	s_mul_hi_u32 s13, s12, s14
	v_mul_hi_u32 v3, v1, s2
	s_add_co_i32 s12, s12, s13
	v_mul_lo_u32 v5, v3, s46
	s_delay_alu instid0(VALU_DEP_1) | instskip(NEXT) | instid1(VALU_DEP_1)
	v_dual_sub_nc_u32 v5, v1, v5 :: v_dual_bitop2_b32 v2, 31, v0 bitop3:0x40
	v_mul_hi_u32 v4, v2, s12
	s_clause 0x3
	s_load_b64 s[36:37], s[0:1], 0x0
	s_load_b96 s[12:14], s[0:1], 0x1c
	s_load_b64 s[38:39], s[0:1], 0x30
	s_load_b96 s[28:30], s[0:1], 0x4c
	s_wait_xcnt 0x0
	s_ashr_i32 s0, s21, 31
	v_cmp_le_u32_e32 vcc_lo, s46, v5
	s_mul_i32 s1, s33, s25
	s_mul_i32 s25, s16, s27
	s_sub_co_i32 s10, s1, s10
	v_mul_lo_u32 v6, v4, s47
	s_delay_alu instid0(VALU_DEP_1) | instskip(NEXT) | instid1(VALU_DEP_1)
	v_dual_add_nc_u32 v7, 1, v3 :: v_dual_sub_nc_u32 v6, v2, v6
	v_dual_cndmask_b32 v3, v3, v7 :: v_dual_add_nc_u32 v8, 1, v4
	v_subrev_nc_u32_e32 v7, s46, v5
	s_delay_alu instid0(VALU_DEP_3) | instskip(NEXT) | instid1(VALU_DEP_1)
	v_cmp_le_u32_e64 s2, s47, v6
	v_dual_cndmask_b32 v5, v5, v7, vcc_lo :: v_dual_cndmask_b32 v4, v4, v8, s2
	v_subrev_nc_u32_e32 v8, s47, v6
	v_add_nc_u32_e32 v7, 1, v3
	s_delay_alu instid0(VALU_DEP_3) | instskip(NEXT) | instid1(VALU_DEP_3)
	v_cmp_le_u32_e32 vcc_lo, s46, v5
	v_cndmask_b32_e64 v6, v6, v8, s2
	s_delay_alu instid0(VALU_DEP_3) | instskip(SKIP_1) | instid1(VALU_DEP_2)
	v_dual_cndmask_b32 v3, v3, v7 :: v_dual_add_nc_u32 v8, 1, v4
	s_ashr_i32 s2, s23, 31
	v_cmp_le_u32_e32 vcc_lo, s47, v6
	s_delay_alu instid0(VALU_DEP_2) | instskip(NEXT) | instid1(VALU_DEP_3)
	v_dual_mov_b32 v3, 0 :: v_dual_bitop2_b32 v5, s0, v3 bitop3:0x14
	v_cndmask_b32_e32 v4, v4, v8, vcc_lo
	s_delay_alu instid0(VALU_DEP_2)
	v_subrev_nc_u32_e32 v11, s0, v5
	s_wait_kmcnt 0x0
	s_mul_i32 s0, s13, s31
	s_sub_co_i32 s13, s25, s24
	v_xor_b32_e32 v6, s2, v4
	s_ashr_i32 s1, s0, 31
	v_mul_lo_u32 v5, v11, s21
	s_lshl_b64 s[0:1], s[0:1], 2
	v_lshlrev_b32_e32 v4, 2, v2
	v_subrev_nc_u32_e32 v12, s2, v6
	s_xor_b32 s2, s45, s44
	s_add_nc_u64 s[36:37], s[36:37], s[0:1]
	s_sub_co_i32 s2, s2, s44
	s_mul_i32 s0, s20, s26
	v_mul_lo_u32 v6, v12, s23
	s_mul_i32 s44, s29, s2
	s_sub_co_i32 s11, s0, s11
	s_ashr_i32 s45, s44, 31
	v_sub_nc_u32_e32 v13, v1, v5
	s_lshl_b64 s[44:45], s[44:45], 2
	v_cmp_gt_i32_e32 vcc_lo, s22, v12
	s_add_nc_u64 s[38:39], s[38:39], s[44:45]
	s_delay_alu instid0(VALU_DEP_3)
	v_sub_nc_u32_e32 v14, v2, v6
	s_branch .LBB37_6
.LBB37_3:                               ;   in Loop: Header=BB37_6 Depth=1
	s_or_b32 exec_lo, exec_lo, s26
.LBB37_4:                               ;   in Loop: Header=BB37_6 Depth=1
	s_delay_alu instid0(SALU_CYCLE_1)
	s_or_b32 exec_lo, exec_lo, s25
.LBB37_5:                               ;   in Loop: Header=BB37_6 Depth=1
	s_delay_alu instid0(SALU_CYCLE_1) | instskip(SKIP_2) | instid1(VALU_DEP_2)
	s_or_b32 exec_lo, exec_lo, s24
	v_add_nc_u32_e32 v1, s3, v1
	v_add_nc_u32_e32 v13, s3, v13
	v_cmp_le_i32_e64 s0, s41, v1
	s_or_b32 s43, s0, s43
	s_delay_alu instid0(SALU_CYCLE_1)
	s_and_not1_b32 exec_lo, exec_lo, s43
	s_cbranch_execz .LBB37_22
.LBB37_6:                               ; =>This Loop Header: Depth=1
                                        ;     Child Loop BB37_8 Depth 2
                                        ;     Child Loop BB37_14 Depth 2
                                        ;       Child Loop BB37_20 Depth 3
	s_mov_b32 s1, exec_lo
	v_cmpx_le_i32_e64 s21, v13
	s_cbranch_execz .LBB37_10
; %bb.7:                                ;   in Loop: Header=BB37_6 Depth=1
	s_mov_b32 s2, 0
.LBB37_8:                               ;   Parent Loop BB37_6 Depth=1
                                        ; =>  This Inner Loop Header: Depth=2
	v_subrev_nc_u32_e32 v13, s21, v13
	v_add_nc_u32_e32 v11, 1, v11
	s_delay_alu instid0(VALU_DEP_2) | instskip(SKIP_1) | instid1(SALU_CYCLE_1)
	v_cmp_gt_i32_e64 s0, s21, v13
	s_or_b32 s2, s0, s2
	s_and_not1_b32 exec_lo, exec_lo, s2
	s_cbranch_execnz .LBB37_8
; %bb.9:                                ;   in Loop: Header=BB37_6 Depth=1
	s_or_b32 exec_lo, exec_lo, s2
.LBB37_10:                              ;   in Loop: Header=BB37_6 Depth=1
	s_delay_alu instid0(SALU_CYCLE_1) | instskip(SKIP_1) | instid1(VALU_DEP_1)
	s_or_b32 exec_lo, exec_lo, s1
	v_mad_u32 v2, v13, s7, s10
	v_cmp_lt_i32_e64 s0, -1, v2
	v_cmp_gt_i32_e64 s1, s17, v2
	s_and_b32 s0, s0, s1
	s_delay_alu instid0(SALU_CYCLE_1)
	s_and_saveexec_b32 s24, s0
	s_cbranch_execz .LBB37_5
; %bb.11:                               ;   in Loop: Header=BB37_6 Depth=1
	s_and_saveexec_b32 s25, vcc_lo
	s_cbranch_execz .LBB37_4
; %bb.12:                               ;   in Loop: Header=BB37_6 Depth=1
	v_mul_lo_u32 v6, s12, v11
	v_mul_lo_u32 v8, s28, v11
	;; [unrolled: 1-line block ×4, first 2 shown]
	v_dual_mov_b32 v5, v3 :: v_dual_mov_b32 v15, v12
	s_mov_b32 s26, 0
	s_delay_alu instid0(VALU_DEP_4) | instskip(NEXT) | instid1(VALU_DEP_3)
	v_dual_ashrrev_i32 v7, 31, v6 :: v_dual_ashrrev_i32 v9, 31, v8
	v_dual_ashrrev_i32 v17, 31, v16 :: v_dual_ashrrev_i32 v19, 31, v18
	s_delay_alu instid0(VALU_DEP_2) | instskip(NEXT) | instid1(VALU_DEP_3)
	v_lshl_add_u64 v[6:7], v[6:7], 2, s[36:37]
	v_lshl_add_u64 v[8:9], v[8:9], 2, s[38:39]
	s_delay_alu instid0(VALU_DEP_2) | instskip(NEXT) | instid1(VALU_DEP_2)
	v_lshl_add_u64 v[16:17], v[16:17], 2, v[6:7]
	v_lshl_add_u64 v[6:7], v[18:19], 2, v[8:9]
	s_delay_alu instid0(VALU_DEP_2)
	v_add_nc_u64_e32 v[8:9], v[16:17], v[4:5]
	v_mov_b32_e32 v5, v14
	s_branch .LBB37_14
.LBB37_13:                              ;   in Loop: Header=BB37_14 Depth=2
	s_or_b32 exec_lo, exec_lo, s1
	v_cmp_le_i32_e64 s0, s22, v15
	v_add_nc_u64_e32 v[8:9], 0x80, v[8:9]
	s_wait_loadcnt 0x0
	v_fmac_f32_e32 v10, v16, v2
	s_or_b32 s26, s0, s26
	s_delay_alu instid0(SALU_CYCLE_1)
	s_and_not1_b32 exec_lo, exec_lo, s26
	s_cbranch_execz .LBB37_3
.LBB37_14:                              ;   Parent Loop BB37_6 Depth=1
                                        ; =>  This Loop Header: Depth=2
                                        ;       Child Loop BB37_20 Depth 3
	global_load_b32 v16, v[8:9], off
	v_mad_u32 v17, v5, s9, s13
	v_mov_b32_e32 v2, 0
	s_mov_b32 s27, exec_lo
	s_wait_xcnt 0x0
	s_delay_alu instid0(VALU_DEP_2)
	v_cmpx_lt_i32_e32 -1, v17
	s_cbranch_execz .LBB37_18
; %bb.15:                               ;   in Loop: Header=BB37_14 Depth=2
	v_mad_u32 v18, v15, s8, s11
	v_cmp_gt_i32_e64 s0, s19, v17
	v_mov_b32_e32 v2, 0
	s_delay_alu instid0(VALU_DEP_3) | instskip(SKIP_2) | instid1(SALU_CYCLE_1)
	v_cmp_gt_i32_e64 s1, s18, v18
	v_cmp_lt_i32_e64 s2, -1, v18
	s_and_b32 s0, s0, s1
	s_and_b32 s1, s0, s2
	s_delay_alu instid0(SALU_CYCLE_1)
	s_and_saveexec_b32 s0, s1
	s_cbranch_execz .LBB37_17
; %bb.16:                               ;   in Loop: Header=BB37_14 Depth=2
	v_mad_u32 v2, v18, s19, v17
	s_delay_alu instid0(VALU_DEP_1)
	v_lshl_add_u64 v[18:19], v[2:3], 2, v[6:7]
	global_load_b32 v2, v[18:19], off
.LBB37_17:                              ;   in Loop: Header=BB37_14 Depth=2
	s_wait_xcnt 0x0
	s_or_b32 exec_lo, exec_lo, s0
.LBB37_18:                              ;   in Loop: Header=BB37_14 Depth=2
	s_delay_alu instid0(SALU_CYCLE_1) | instskip(SKIP_2) | instid1(VALU_DEP_1)
	s_or_b32 exec_lo, exec_lo, s27
	v_add_nc_u32_e32 v5, 32, v5
	s_mov_b32 s1, exec_lo
	v_cmpx_le_i32_e64 s23, v5
	s_cbranch_execz .LBB37_13
; %bb.19:                               ;   in Loop: Header=BB37_14 Depth=2
	s_mov_b32 s2, 0
.LBB37_20:                              ;   Parent Loop BB37_6 Depth=1
                                        ;     Parent Loop BB37_14 Depth=2
                                        ; =>    This Inner Loop Header: Depth=3
	v_subrev_nc_u32_e32 v5, s23, v5
	v_add_nc_u32_e32 v15, 1, v15
	s_delay_alu instid0(VALU_DEP_2) | instskip(SKIP_1) | instid1(SALU_CYCLE_1)
	v_cmp_gt_i32_e64 s0, s23, v5
	s_or_b32 s2, s0, s2
	s_and_not1_b32 exec_lo, exec_lo, s2
	s_cbranch_execnz .LBB37_20
; %bb.21:                               ;   in Loop: Header=BB37_14 Depth=2
	s_or_b32 exec_lo, exec_lo, s2
	s_branch .LBB37_13
.LBB37_22:
	s_or_b32 exec_lo, exec_lo, s43
.LBB37_23:
	s_delay_alu instid0(SALU_CYCLE_1) | instskip(SKIP_3) | instid1(SALU_CYCLE_1)
	s_or_b32 exec_lo, exec_lo, s42
	s_load_b64 s[0:1], s[34:35], 0x0
	v_lshl_add_u32 v1, v0, 2, 0
	s_bcnt1_i32_b32 s2, s40
	s_cmp_lg_u32 s2, 1
	s_mov_b32 s2, -1
	ds_store_b32 v1, v10
	s_wait_dscnt 0x0
	s_barrier_signal -1
	s_barrier_wait -1
	s_cbranch_scc1 .LBB37_32
; %bb.24:
	s_and_not1_b32 vcc_lo, exec_lo, s2
	s_cbranch_vccnz .LBB37_28
.LBB37_25:
	s_cmp_lt_u32 s40, 2
	s_cbranch_scc0 .LBB37_30
.LBB37_26:
	s_mov_b32 s2, exec_lo
	v_cmpx_eq_u32_e32 0, v0
	s_cbranch_execz .LBB37_28
; %bb.27:
	s_mul_i32 s8, s4, s33
	s_mul_i32 s4, s6, s16
	s_delay_alu instid0(SALU_CYCLE_1)
	v_dual_mov_b32 v0, 0 :: v_dual_mov_b32 v1, s4
	s_mul_i32 s2, s15, s31
	s_ashr_i32 s9, s8, 31
	s_ashr_i32 s3, s2, 31
	ds_load_b32 v0, v0
	s_lshl_b64 s[2:3], s[2:3], 2
	s_wait_kmcnt 0x0
	s_add_nc_u64 s[0:1], s[0:1], s[2:3]
	s_lshl_b64 s[2:3], s[8:9], 2
	s_delay_alu instid0(SALU_CYCLE_1) | instskip(SKIP_1) | instid1(SALU_CYCLE_1)
	s_add_nc_u64 s[0:1], s[0:1], s[2:3]
	s_mul_i32 s2, s5, s20
	s_ashr_i32 s3, s2, 31
	s_delay_alu instid0(SALU_CYCLE_1) | instskip(NEXT) | instid1(SALU_CYCLE_1)
	s_lshl_b64 s[2:3], s[2:3], 2
	s_add_nc_u64 s[0:1], s[0:1], s[2:3]
	s_wait_dscnt 0x0
	global_store_b32 v1, v0, s[0:1] scale_offset
.LBB37_28:
	s_endpgm
.LBB37_29:                              ;   in Loop: Header=BB37_30 Depth=1
	s_or_b32 exec_lo, exec_lo, s3
	s_cmp_lt_u32 s40, 4
	s_mov_b32 s40, s2
	s_wait_dscnt 0x0
	s_barrier_signal -1
	s_barrier_wait -1
	s_cbranch_scc1 .LBB37_26
.LBB37_30:                              ; =>This Inner Loop Header: Depth=1
	s_lshr_b32 s2, s40, 1
	s_mov_b32 s3, exec_lo
	v_cmpx_gt_u32_e64 s2, v0
	s_cbranch_execz .LBB37_29
; %bb.31:                               ;   in Loop: Header=BB37_30 Depth=1
	v_lshl_add_u32 v2, s2, 2, v1
	ds_load_b32 v2, v2
	ds_load_b32 v3, v1
	s_wait_dscnt 0x0
	v_add_f32_e32 v2, v2, v3
	ds_store_b32 v1, v2
	s_branch .LBB37_29
.LBB37_32:
	s_trap 2
	; divergent unreachable
	s_cbranch_execz .LBB37_25
	s_branch .LBB37_28
	.section	.rodata,"a",@progbits
	.p2align	6, 0x0
	.amdhsa_kernel _ZN2at6native12_GLOBAL__N_144conv_depthwise3d_cuda_backward_weight_kernelIffLin1ELin1EEEvN5torch10headeronly6detail27GenericPackedTensorAccessorINS5_14TensorAccessorIN3c108ArrayRefIlEEKT_Lm4ENS4_16DefaultPtrTraitsEiEENS_6detail16IndexBoundsCheckILm5EiEESC_Lm5ESD_iEESI_NS6_INS7_ISA_SB_Lm4ESD_iEESH_SB_Lm5ESD_iEEiiiiiiiii
		.amdhsa_group_segment_fixed_size 0
		.amdhsa_private_segment_fixed_size 0
		.amdhsa_kernarg_size 440
		.amdhsa_user_sgpr_count 2
		.amdhsa_user_sgpr_dispatch_ptr 0
		.amdhsa_user_sgpr_queue_ptr 0
		.amdhsa_user_sgpr_kernarg_segment_ptr 1
		.amdhsa_user_sgpr_dispatch_id 0
		.amdhsa_user_sgpr_kernarg_preload_length 0
		.amdhsa_user_sgpr_kernarg_preload_offset 0
		.amdhsa_user_sgpr_private_segment_size 0
		.amdhsa_wavefront_size32 1
		.amdhsa_uses_dynamic_stack 0
		.amdhsa_enable_private_segment 0
		.amdhsa_system_sgpr_workgroup_id_x 1
		.amdhsa_system_sgpr_workgroup_id_y 0
		.amdhsa_system_sgpr_workgroup_id_z 0
		.amdhsa_system_sgpr_workgroup_info 0
		.amdhsa_system_vgpr_workitem_id 0
		.amdhsa_next_free_vgpr 20
		.amdhsa_next_free_sgpr 48
		.amdhsa_named_barrier_count 0
		.amdhsa_reserve_vcc 1
		.amdhsa_float_round_mode_32 0
		.amdhsa_float_round_mode_16_64 0
		.amdhsa_float_denorm_mode_32 3
		.amdhsa_float_denorm_mode_16_64 3
		.amdhsa_fp16_overflow 0
		.amdhsa_memory_ordered 1
		.amdhsa_forward_progress 1
		.amdhsa_inst_pref_size 17
		.amdhsa_round_robin_scheduling 0
		.amdhsa_exception_fp_ieee_invalid_op 0
		.amdhsa_exception_fp_denorm_src 0
		.amdhsa_exception_fp_ieee_div_zero 0
		.amdhsa_exception_fp_ieee_overflow 0
		.amdhsa_exception_fp_ieee_underflow 0
		.amdhsa_exception_fp_ieee_inexact 0
		.amdhsa_exception_int_div_zero 0
	.end_amdhsa_kernel
	.section	.text._ZN2at6native12_GLOBAL__N_144conv_depthwise3d_cuda_backward_weight_kernelIffLin1ELin1EEEvN5torch10headeronly6detail27GenericPackedTensorAccessorINS5_14TensorAccessorIN3c108ArrayRefIlEEKT_Lm4ENS4_16DefaultPtrTraitsEiEENS_6detail16IndexBoundsCheckILm5EiEESC_Lm5ESD_iEESI_NS6_INS7_ISA_SB_Lm4ESD_iEESH_SB_Lm5ESD_iEEiiiiiiiii,"axG",@progbits,_ZN2at6native12_GLOBAL__N_144conv_depthwise3d_cuda_backward_weight_kernelIffLin1ELin1EEEvN5torch10headeronly6detail27GenericPackedTensorAccessorINS5_14TensorAccessorIN3c108ArrayRefIlEEKT_Lm4ENS4_16DefaultPtrTraitsEiEENS_6detail16IndexBoundsCheckILm5EiEESC_Lm5ESD_iEESI_NS6_INS7_ISA_SB_Lm4ESD_iEESH_SB_Lm5ESD_iEEiiiiiiiii,comdat
.Lfunc_end37:
	.size	_ZN2at6native12_GLOBAL__N_144conv_depthwise3d_cuda_backward_weight_kernelIffLin1ELin1EEEvN5torch10headeronly6detail27GenericPackedTensorAccessorINS5_14TensorAccessorIN3c108ArrayRefIlEEKT_Lm4ENS4_16DefaultPtrTraitsEiEENS_6detail16IndexBoundsCheckILm5EiEESC_Lm5ESD_iEESI_NS6_INS7_ISA_SB_Lm4ESD_iEESH_SB_Lm5ESD_iEEiiiiiiiii, .Lfunc_end37-_ZN2at6native12_GLOBAL__N_144conv_depthwise3d_cuda_backward_weight_kernelIffLin1ELin1EEEvN5torch10headeronly6detail27GenericPackedTensorAccessorINS5_14TensorAccessorIN3c108ArrayRefIlEEKT_Lm4ENS4_16DefaultPtrTraitsEiEENS_6detail16IndexBoundsCheckILm5EiEESC_Lm5ESD_iEESI_NS6_INS7_ISA_SB_Lm4ESD_iEESH_SB_Lm5ESD_iEEiiiiiiiii
                                        ; -- End function
	.set _ZN2at6native12_GLOBAL__N_144conv_depthwise3d_cuda_backward_weight_kernelIffLin1ELin1EEEvN5torch10headeronly6detail27GenericPackedTensorAccessorINS5_14TensorAccessorIN3c108ArrayRefIlEEKT_Lm4ENS4_16DefaultPtrTraitsEiEENS_6detail16IndexBoundsCheckILm5EiEESC_Lm5ESD_iEESI_NS6_INS7_ISA_SB_Lm4ESD_iEESH_SB_Lm5ESD_iEEiiiiiiiii.num_vgpr, 20
	.set _ZN2at6native12_GLOBAL__N_144conv_depthwise3d_cuda_backward_weight_kernelIffLin1ELin1EEEvN5torch10headeronly6detail27GenericPackedTensorAccessorINS5_14TensorAccessorIN3c108ArrayRefIlEEKT_Lm4ENS4_16DefaultPtrTraitsEiEENS_6detail16IndexBoundsCheckILm5EiEESC_Lm5ESD_iEESI_NS6_INS7_ISA_SB_Lm4ESD_iEESH_SB_Lm5ESD_iEEiiiiiiiii.num_agpr, 0
	.set _ZN2at6native12_GLOBAL__N_144conv_depthwise3d_cuda_backward_weight_kernelIffLin1ELin1EEEvN5torch10headeronly6detail27GenericPackedTensorAccessorINS5_14TensorAccessorIN3c108ArrayRefIlEEKT_Lm4ENS4_16DefaultPtrTraitsEiEENS_6detail16IndexBoundsCheckILm5EiEESC_Lm5ESD_iEESI_NS6_INS7_ISA_SB_Lm4ESD_iEESH_SB_Lm5ESD_iEEiiiiiiiii.numbered_sgpr, 48
	.set _ZN2at6native12_GLOBAL__N_144conv_depthwise3d_cuda_backward_weight_kernelIffLin1ELin1EEEvN5torch10headeronly6detail27GenericPackedTensorAccessorINS5_14TensorAccessorIN3c108ArrayRefIlEEKT_Lm4ENS4_16DefaultPtrTraitsEiEENS_6detail16IndexBoundsCheckILm5EiEESC_Lm5ESD_iEESI_NS6_INS7_ISA_SB_Lm4ESD_iEESH_SB_Lm5ESD_iEEiiiiiiiii.num_named_barrier, 0
	.set _ZN2at6native12_GLOBAL__N_144conv_depthwise3d_cuda_backward_weight_kernelIffLin1ELin1EEEvN5torch10headeronly6detail27GenericPackedTensorAccessorINS5_14TensorAccessorIN3c108ArrayRefIlEEKT_Lm4ENS4_16DefaultPtrTraitsEiEENS_6detail16IndexBoundsCheckILm5EiEESC_Lm5ESD_iEESI_NS6_INS7_ISA_SB_Lm4ESD_iEESH_SB_Lm5ESD_iEEiiiiiiiii.private_seg_size, 0
	.set _ZN2at6native12_GLOBAL__N_144conv_depthwise3d_cuda_backward_weight_kernelIffLin1ELin1EEEvN5torch10headeronly6detail27GenericPackedTensorAccessorINS5_14TensorAccessorIN3c108ArrayRefIlEEKT_Lm4ENS4_16DefaultPtrTraitsEiEENS_6detail16IndexBoundsCheckILm5EiEESC_Lm5ESD_iEESI_NS6_INS7_ISA_SB_Lm4ESD_iEESH_SB_Lm5ESD_iEEiiiiiiiii.uses_vcc, 1
	.set _ZN2at6native12_GLOBAL__N_144conv_depthwise3d_cuda_backward_weight_kernelIffLin1ELin1EEEvN5torch10headeronly6detail27GenericPackedTensorAccessorINS5_14TensorAccessorIN3c108ArrayRefIlEEKT_Lm4ENS4_16DefaultPtrTraitsEiEENS_6detail16IndexBoundsCheckILm5EiEESC_Lm5ESD_iEESI_NS6_INS7_ISA_SB_Lm4ESD_iEESH_SB_Lm5ESD_iEEiiiiiiiii.uses_flat_scratch, 0
	.set _ZN2at6native12_GLOBAL__N_144conv_depthwise3d_cuda_backward_weight_kernelIffLin1ELin1EEEvN5torch10headeronly6detail27GenericPackedTensorAccessorINS5_14TensorAccessorIN3c108ArrayRefIlEEKT_Lm4ENS4_16DefaultPtrTraitsEiEENS_6detail16IndexBoundsCheckILm5EiEESC_Lm5ESD_iEESI_NS6_INS7_ISA_SB_Lm4ESD_iEESH_SB_Lm5ESD_iEEiiiiiiiii.has_dyn_sized_stack, 0
	.set _ZN2at6native12_GLOBAL__N_144conv_depthwise3d_cuda_backward_weight_kernelIffLin1ELin1EEEvN5torch10headeronly6detail27GenericPackedTensorAccessorINS5_14TensorAccessorIN3c108ArrayRefIlEEKT_Lm4ENS4_16DefaultPtrTraitsEiEENS_6detail16IndexBoundsCheckILm5EiEESC_Lm5ESD_iEESI_NS6_INS7_ISA_SB_Lm4ESD_iEESH_SB_Lm5ESD_iEEiiiiiiiii.has_recursion, 0
	.set _ZN2at6native12_GLOBAL__N_144conv_depthwise3d_cuda_backward_weight_kernelIffLin1ELin1EEEvN5torch10headeronly6detail27GenericPackedTensorAccessorINS5_14TensorAccessorIN3c108ArrayRefIlEEKT_Lm4ENS4_16DefaultPtrTraitsEiEENS_6detail16IndexBoundsCheckILm5EiEESC_Lm5ESD_iEESI_NS6_INS7_ISA_SB_Lm4ESD_iEESH_SB_Lm5ESD_iEEiiiiiiiii.has_indirect_call, 0
	.section	.AMDGPU.csdata,"",@progbits
; Kernel info:
; codeLenInByte = 2080
; TotalNumSgprs: 50
; NumVgprs: 20
; ScratchSize: 0
; MemoryBound: 0
; FloatMode: 240
; IeeeMode: 1
; LDSByteSize: 0 bytes/workgroup (compile time only)
; SGPRBlocks: 0
; VGPRBlocks: 1
; NumSGPRsForWavesPerEU: 50
; NumVGPRsForWavesPerEU: 20
; NamedBarCnt: 0
; Occupancy: 16
; WaveLimiterHint : 1
; COMPUTE_PGM_RSRC2:SCRATCH_EN: 0
; COMPUTE_PGM_RSRC2:USER_SGPR: 2
; COMPUTE_PGM_RSRC2:TRAP_HANDLER: 0
; COMPUTE_PGM_RSRC2:TGID_X_EN: 1
; COMPUTE_PGM_RSRC2:TGID_Y_EN: 0
; COMPUTE_PGM_RSRC2:TGID_Z_EN: 0
; COMPUTE_PGM_RSRC2:TIDIG_COMP_CNT: 0
	.section	.text._ZN2at6native12_GLOBAL__N_144conv_depthwise3d_cuda_backward_weight_kernelIN3c104HalfEfLi1ELi1EEEvN5torch10headeronly6detail27GenericPackedTensorAccessorINS7_14TensorAccessorINS3_8ArrayRefIlEEKT_Lm4ENS6_16DefaultPtrTraitsEiEENS_6detail16IndexBoundsCheckILm5EiEESD_Lm5ESE_iEESJ_NS8_INS9_ISB_SC_Lm4ESE_iEESI_SC_Lm5ESE_iEEiiiiiiiii,"axG",@progbits,_ZN2at6native12_GLOBAL__N_144conv_depthwise3d_cuda_backward_weight_kernelIN3c104HalfEfLi1ELi1EEEvN5torch10headeronly6detail27GenericPackedTensorAccessorINS7_14TensorAccessorINS3_8ArrayRefIlEEKT_Lm4ENS6_16DefaultPtrTraitsEiEENS_6detail16IndexBoundsCheckILm5EiEESD_Lm5ESE_iEESJ_NS8_INS9_ISB_SC_Lm4ESE_iEESI_SC_Lm5ESE_iEEiiiiiiiii,comdat
	.globl	_ZN2at6native12_GLOBAL__N_144conv_depthwise3d_cuda_backward_weight_kernelIN3c104HalfEfLi1ELi1EEEvN5torch10headeronly6detail27GenericPackedTensorAccessorINS7_14TensorAccessorINS3_8ArrayRefIlEEKT_Lm4ENS6_16DefaultPtrTraitsEiEENS_6detail16IndexBoundsCheckILm5EiEESD_Lm5ESE_iEESJ_NS8_INS9_ISB_SC_Lm4ESE_iEESI_SC_Lm5ESE_iEEiiiiiiiii ; -- Begin function _ZN2at6native12_GLOBAL__N_144conv_depthwise3d_cuda_backward_weight_kernelIN3c104HalfEfLi1ELi1EEEvN5torch10headeronly6detail27GenericPackedTensorAccessorINS7_14TensorAccessorINS3_8ArrayRefIlEEKT_Lm4ENS6_16DefaultPtrTraitsEiEENS_6detail16IndexBoundsCheckILm5EiEESD_Lm5ESE_iEESJ_NS8_INS9_ISB_SC_Lm4ESE_iEESI_SC_Lm5ESE_iEEiiiiiiiii
	.p2align	8
	.type	_ZN2at6native12_GLOBAL__N_144conv_depthwise3d_cuda_backward_weight_kernelIN3c104HalfEfLi1ELi1EEEvN5torch10headeronly6detail27GenericPackedTensorAccessorINS7_14TensorAccessorINS3_8ArrayRefIlEEKT_Lm4ENS6_16DefaultPtrTraitsEiEENS_6detail16IndexBoundsCheckILm5EiEESD_Lm5ESE_iEESJ_NS8_INS9_ISB_SC_Lm4ESE_iEESI_SC_Lm5ESE_iEEiiiiiiiii,@function
_ZN2at6native12_GLOBAL__N_144conv_depthwise3d_cuda_backward_weight_kernelIN3c104HalfEfLi1ELi1EEEvN5torch10headeronly6detail27GenericPackedTensorAccessorINS7_14TensorAccessorINS3_8ArrayRefIlEEKT_Lm4ENS6_16DefaultPtrTraitsEiEENS_6detail16IndexBoundsCheckILm5EiEESD_Lm5ESE_iEESJ_NS8_INS9_ISB_SC_Lm4ESE_iEESI_SC_Lm5ESE_iEEiiiiiiiii: ; @_ZN2at6native12_GLOBAL__N_144conv_depthwise3d_cuda_backward_weight_kernelIN3c104HalfEfLi1ELi1EEEvN5torch10headeronly6detail27GenericPackedTensorAccessorINS7_14TensorAccessorINS3_8ArrayRefIlEEKT_Lm4ENS6_16DefaultPtrTraitsEiEENS_6detail16IndexBoundsCheckILm5EiEESD_Lm5ESE_iEESJ_NS8_INS9_ISB_SC_Lm4ESE_iEESI_SC_Lm5ESE_iEEiiiiiiiii
; %bb.0:
	s_load_b128 s[4:7], s[0:1], 0x70
	s_and_b32 s8, ttmp6, 15
	s_getreg_b32 s9, hwreg(HW_REG_IB_STS2, 6, 4)
	s_load_b128 s[16:19], s[0:1], 0xc
	s_wait_kmcnt 0x0
	s_cvt_f32_u32 s2, s6
	s_delay_alu instid0(SALU_CYCLE_3) | instskip(SKIP_1) | instid1(SALU_CYCLE_1)
	v_rcp_iflag_f32_e32 v1, s2
	s_bfe_u32 s2, ttmp6, 0x4000c
	s_add_co_i32 s2, s2, 1
	s_delay_alu instid0(SALU_CYCLE_1) | instskip(SKIP_1) | instid1(TRANS32_DEP_1)
	s_mul_i32 s2, ttmp9, s2
	v_nop
	v_readfirstlane_b32 s3, v1
	s_add_co_i32 s8, s8, s2
	s_cmp_eq_u32 s9, 0
	s_cselect_b32 s2, ttmp9, s8
	s_mul_f32 s3, s3, 0x4f7ffffe
	s_cvt_f32_u32 s8, s5
	s_sub_co_i32 s9, 0, s6
	s_delay_alu instid0(SALU_CYCLE_1) | instskip(NEXT) | instid1(SALU_CYCLE_1)
	s_cvt_u32_f32 s3, s3
	v_rcp_iflag_f32_e32 v1, s8
	s_delay_alu instid0(SALU_CYCLE_2) | instskip(NEXT) | instid1(SALU_CYCLE_1)
	s_mul_i32 s9, s9, s3
	s_mul_hi_u32 s8, s3, s9
	s_delay_alu instid0(SALU_CYCLE_1) | instskip(SKIP_1) | instid1(TRANS32_DEP_1)
	s_add_co_i32 s3, s3, s8
	v_nop
	v_readfirstlane_b32 s10, v1
	s_mul_hi_u32 s3, s2, s3
	s_cvt_f32_u32 s8, s4
	s_mul_i32 s9, s3, s6
	s_add_co_i32 s11, s3, 1
	s_sub_co_i32 s9, s2, s9
	s_mul_f32 s10, s10, 0x4f7ffffe
	s_sub_co_i32 s12, s9, s6
	s_cmp_ge_u32 s9, s6
	v_rcp_iflag_f32_e32 v1, s8
	s_cselect_b32 s3, s11, s3
	s_cselect_b32 s9, s12, s9
	s_add_co_i32 s11, s3, 1
	s_cmp_ge_u32 s9, s6
	s_cvt_u32_f32 s9, s10
	s_cselect_b32 s20, s11, s3
	s_sub_co_i32 s3, 0, s5
	s_load_b128 s[12:15], s[0:1], 0x3c
	s_mul_i32 s3, s3, s9
	s_delay_alu instid0(SALU_CYCLE_1) | instskip(NEXT) | instid1(SALU_CYCLE_1)
	s_mul_hi_u32 s3, s9, s3
	s_add_co_i32 s9, s9, s3
	s_delay_alu instid0(SALU_CYCLE_1)
	s_mul_hi_u32 s3, s20, s9
	v_nop
	v_readfirstlane_b32 s9, v1
	s_mul_i32 s8, s3, s5
	s_add_co_i32 s10, s3, 1
	s_sub_co_i32 s8, s20, s8
	s_delay_alu instid0(SALU_CYCLE_1)
	s_sub_co_i32 s11, s8, s5
	s_cmp_ge_u32 s8, s5
	s_mul_f32 s9, s9, 0x4f7ffffe
	s_cselect_b32 s3, s10, s3
	s_cselect_b32 s8, s11, s8
	s_add_co_i32 s10, s3, 1
	s_cmp_ge_u32 s8, s5
	s_cvt_u32_f32 s8, s9
	s_cselect_b32 s21, s10, s3
	s_sub_co_i32 s3, 0, s4
	s_delay_alu instid0(SALU_CYCLE_1) | instskip(NEXT) | instid1(SALU_CYCLE_1)
	s_mul_i32 s3, s3, s8
	s_mul_hi_u32 s3, s8, s3
	s_delay_alu instid0(SALU_CYCLE_1) | instskip(NEXT) | instid1(SALU_CYCLE_1)
	s_add_co_i32 s8, s8, s3
	s_mul_hi_u32 s3, s21, s8
	s_delay_alu instid0(SALU_CYCLE_1) | instskip(SKIP_2) | instid1(SALU_CYCLE_1)
	s_mul_i32 s8, s3, s4
	s_add_co_i32 s9, s3, 1
	s_sub_co_i32 s8, s21, s8
	s_sub_co_i32 s10, s8, s4
	s_cmp_ge_u32 s8, s4
	s_cselect_b32 s3, s9, s3
	s_cselect_b32 s8, s10, s8
	s_add_co_i32 s9, s3, 1
	s_cmp_ge_u32 s8, s4
	s_cselect_b32 s27, s9, s3
	s_wait_kmcnt 0x0
	s_abs_i32 s3, s12
	s_abs_i32 s10, s16
	s_cvt_f32_u32 s8, s3
	s_sub_co_i32 s9, 0, s3
	s_delay_alu instid0(SALU_CYCLE_2) | instskip(SKIP_1) | instid1(TRANS32_DEP_1)
	v_rcp_iflag_f32_e32 v1, s8
	v_nop
	v_readfirstlane_b32 s8, v1
	s_mul_f32 s8, s8, 0x4f7ffffe
	s_delay_alu instid0(SALU_CYCLE_3) | instskip(NEXT) | instid1(SALU_CYCLE_3)
	s_cvt_u32_f32 s8, s8
	s_mul_i32 s9, s9, s8
	s_delay_alu instid0(SALU_CYCLE_1) | instskip(NEXT) | instid1(SALU_CYCLE_1)
	s_mul_hi_u32 s9, s8, s9
	s_add_co_i32 s8, s8, s9
	s_xor_b32 s9, s16, s12
	s_mul_hi_u32 s8, s10, s8
	s_ashr_i32 s9, s9, 31
	s_mul_i32 s11, s8, s3
	s_delay_alu instid0(SALU_CYCLE_1)
	s_sub_co_i32 s10, s10, s11
	s_add_co_i32 s11, s8, 1
	s_sub_co_i32 s12, s10, s3
	s_cmp_ge_u32 s10, s3
	s_cselect_b32 s8, s11, s8
	s_cselect_b32 s10, s12, s10
	s_add_co_i32 s11, s8, 1
	s_cmp_ge_u32 s10, s3
	s_cselect_b32 s3, s11, s8
	s_load_b32 s8, s[0:1], 0x68
	s_xor_b32 s3, s3, s9
	s_delay_alu instid0(SALU_CYCLE_1) | instskip(NEXT) | instid1(SALU_CYCLE_1)
	s_sub_co_i32 s23, s3, s9
	s_abs_i32 s22, s23
	s_delay_alu instid0(SALU_CYCLE_1) | instskip(NEXT) | instid1(SALU_CYCLE_3)
	s_cvt_f32_u32 s3, s22
	v_rcp_iflag_f32_e32 v1, s3
	s_mov_b32 s3, 0
	v_nop
	s_delay_alu instid0(TRANS32_DEP_1)
	v_readfirstlane_b32 s24, v1
	s_wait_kmcnt 0x0
	s_cmp_ge_i32 s27, s8
	s_cbranch_scc1 .LBB38_28
; %bb.1:
	s_load_b32 s37, s[0:1], 0x38
	s_add_nc_u64 s[28:29], s[0:1], 0x60
	s_load_b32 s25, s[0:1], 0xc4
	s_load_b128 s[8:11], s[28:29], 0x24
	v_dual_mov_b32 v2, 0 :: v_dual_lshrrev_b32 v1, 5, v0
	s_mul_i32 s6, s20, s6
	s_mul_i32 s5, s21, s5
	;; [unrolled: 1-line block ×3, first 2 shown]
	s_sub_co_i32 s12, s2, s6
	s_sub_co_i32 s16, s20, s5
	s_sub_co_i32 s33, s21, s4
	s_mov_b32 s38, exec_lo
	s_wait_kmcnt 0x0
	s_mul_i32 s37, s37, s17
	s_and_b32 s36, s25, 0xffff
	v_cmpx_gt_i32_e64 s37, v1
	s_cbranch_execz .LBB38_23
; %bb.2:
	s_mul_f32 s2, s24, 0x4f7ffffe
	s_ashr_i32 s6, s27, 31
	s_mov_b32 s39, 0
	v_mov_b32_e32 v13, 0
	s_cvt_u32_f32 s4, s2
	s_sub_co_i32 s2, 0, s22
	s_delay_alu instid0(SALU_CYCLE_2)
	s_mul_i32 s5, s2, s4
	s_abs_i32 s2, s27
	s_mul_hi_u32 s20, s4, s5
	s_mov_b32 s5, s3
	s_add_co_i32 s4, s4, s20
	s_ashr_i32 s20, s23, 31
	s_mul_u64 s[4:5], s[2:3], s[4:5]
	s_lshr_b32 s3, s36, 5
	s_mul_i32 s4, s5, s22
	s_xor_b32 s42, s6, s20
	s_sub_co_i32 s2, s2, s4
	s_add_co_i32 s4, s5, 1
	s_sub_co_i32 s6, s2, s22
	s_cmp_ge_u32 s2, s22
	s_cselect_b32 s4, s4, s5
	s_cselect_b32 s2, s6, s2
	s_add_co_i32 s5, s4, 1
	s_cmp_ge_u32 s2, s22
	s_clause 0x1
	s_load_b128 s[20:23], s[0:1], 0x9c
	s_load_b64 s[40:41], s[0:1], 0xac
	s_cselect_b32 s43, s5, s4
	s_abs_i32 s44, s17
	s_abs_i32 s45, s19
	s_cvt_f32_u32 s2, s44
	s_cvt_f32_u32 s4, s45
	s_sub_co_i32 s5, 0, s44
	s_sub_co_i32 s6, 0, s45
	v_rcp_iflag_f32_e32 v2, s2
	v_rcp_iflag_f32_e32 v3, s4
	s_delay_alu instid0(TRANS32_DEP_2) | instskip(NEXT) | instid1(TRANS32_DEP_1)
	v_readfirstlane_b32 s2, v2
	v_readfirstlane_b32 s4, v3
	s_wait_kmcnt 0x0
	s_mul_i32 s23, s33, s23
	s_mul_f32 s2, s2, 0x4f7ffffe
	s_mul_f32 s4, s4, 0x4f7ffffe
	s_delay_alu instid0(SALU_CYCLE_2) | instskip(NEXT) | instid1(SALU_CYCLE_2)
	s_cvt_u32_f32 s2, s2
	s_cvt_u32_f32 s4, s4
	s_delay_alu instid0(SALU_CYCLE_2) | instskip(NEXT) | instid1(SALU_CYCLE_2)
	s_mul_i32 s5, s5, s2
	s_mul_i32 s6, s6, s4
	s_mul_hi_u32 s5, s2, s5
	s_delay_alu instid0(SALU_CYCLE_1) | instskip(SKIP_4) | instid1(VALU_DEP_2)
	s_add_co_i32 s2, s2, s5
	s_mul_hi_u32 s5, s4, s6
	v_mul_hi_u32 v3, v1, s2
	v_and_b32_e32 v2, 31, v0
	s_add_co_i32 s4, s4, s5
	v_add_nc_u32_e32 v7, 1, v3
	s_delay_alu instid0(VALU_DEP_2)
	v_mul_hi_u32 v4, v2, s4
	v_mul_lo_u32 v5, v3, s44
	s_clause 0x3
	s_load_b64 s[30:31], s[0:1], 0x0
	s_load_b96 s[4:6], s[0:1], 0x1c
	s_load_b64 s[34:35], s[0:1], 0x30
	s_load_b96 s[24:26], s[0:1], 0x4c
	s_wait_xcnt 0x0
	s_ashr_i32 s1, s17, 31
	s_delay_alu instid0(VALU_DEP_2) | instskip(NEXT) | instid1(VALU_DEP_1)
	v_mul_lo_u32 v6, v4, s45
	v_dual_sub_nc_u32 v5, v1, v5 :: v_dual_sub_nc_u32 v6, v2, v6
	s_delay_alu instid0(VALU_DEP_1)
	v_cmp_le_u32_e32 vcc_lo, s44, v5
	v_add_nc_u32_e32 v8, 1, v4
	s_wait_kmcnt 0x0
	s_mul_i32 s0, s5, s27
	s_sub_co_i32 s5, s23, s20
	v_cmp_le_u32_e64 s2, s45, v6
	v_cndmask_b32_e32 v3, v3, v7, vcc_lo
	v_subrev_nc_u32_e32 v7, s44, v5
	v_subrev_nc_u32_e32 v9, s45, v6
	s_delay_alu instid0(VALU_DEP_2) | instskip(NEXT) | instid1(VALU_DEP_2)
	v_dual_cndmask_b32 v4, v4, v8, s2 :: v_dual_cndmask_b32 v5, v5, v7, vcc_lo
	v_dual_add_nc_u32 v7, 1, v3 :: v_dual_cndmask_b32 v6, v6, v9, s2
	s_ashr_i32 s2, s19, 31
	s_delay_alu instid0(VALU_DEP_2) | instskip(NEXT) | instid1(VALU_DEP_2)
	v_cmp_le_u32_e32 vcc_lo, s44, v5
	v_dual_cndmask_b32 v5, v3, v7 :: v_dual_add_nc_u32 v8, 1, v4
	s_delay_alu instid0(VALU_DEP_3) | instskip(NEXT) | instid1(VALU_DEP_2)
	v_cmp_le_u32_e32 vcc_lo, s45, v6
	v_dual_mov_b32 v3, 0 :: v_dual_bitop2_b32 v5, s1, v5 bitop3:0x14
	s_delay_alu instid0(VALU_DEP_3) | instskip(NEXT) | instid1(VALU_DEP_1)
	v_cndmask_b32_e32 v4, v4, v8, vcc_lo
	v_dual_lshlrev_b32 v4, 1, v2 :: v_dual_bitop2_b32 v6, s2, v4 bitop3:0x14
	s_delay_alu instid0(VALU_DEP_3) | instskip(SKIP_1) | instid1(SALU_CYCLE_1)
	v_subrev_nc_u32_e32 v10, s1, v5
	s_xor_b32 s1, s43, s42
	s_sub_co_i32 s1, s1, s42
	s_delay_alu instid0(VALU_DEP_1)
	v_mul_lo_u32 v5, v10, s17
	s_mul_i32 s42, s25, s1
	s_ashr_i32 s1, s0, 31
	s_ashr_i32 s43, s42, 31
	s_lshl_b64 s[0:1], s[0:1], 1
	s_lshl_b64 s[42:43], s[42:43], 1
	s_add_nc_u64 s[30:31], s[30:31], s[0:1]
	s_mul_i32 s0, s16, s40
	s_add_nc_u64 s[34:35], s[34:35], s[42:43]
	s_sub_co_i32 s21, s0, s21
	s_delay_alu instid0(VALU_DEP_1) | instskip(SKIP_2) | instid1(SALU_CYCLE_1)
	v_sub_nc_u32_e32 v12, v1, v5
	v_subrev_nc_u32_e32 v11, s2, v6
	s_mul_i32 s2, s12, s41
	s_sub_co_i32 s20, s2, s22
	s_delay_alu instid0(VALU_DEP_1) | instskip(SKIP_1) | instid1(VALU_DEP_2)
	v_mul_lo_u32 v6, v11, s19
	v_cmp_gt_i32_e32 vcc_lo, s18, v11
	v_sub_nc_u32_e32 v14, v2, v6
	s_branch .LBB38_6
.LBB38_3:                               ;   in Loop: Header=BB38_6 Depth=1
	s_or_b32 exec_lo, exec_lo, s25
.LBB38_4:                               ;   in Loop: Header=BB38_6 Depth=1
	s_delay_alu instid0(SALU_CYCLE_1)
	s_or_b32 exec_lo, exec_lo, s23
.LBB38_5:                               ;   in Loop: Header=BB38_6 Depth=1
	s_delay_alu instid0(SALU_CYCLE_1) | instskip(SKIP_1) | instid1(VALU_DEP_1)
	s_or_b32 exec_lo, exec_lo, s22
	v_dual_add_nc_u32 v1, s3, v1 :: v_dual_add_nc_u32 v12, s3, v12
	v_cmp_le_i32_e64 s0, s37, v1
	s_or_b32 s39, s0, s39
	s_delay_alu instid0(SALU_CYCLE_1)
	s_and_not1_b32 exec_lo, exec_lo, s39
	s_cbranch_execz .LBB38_22
.LBB38_6:                               ; =>This Loop Header: Depth=1
                                        ;     Child Loop BB38_8 Depth 2
                                        ;     Child Loop BB38_14 Depth 2
                                        ;       Child Loop BB38_20 Depth 3
	s_mov_b32 s1, exec_lo
	v_cmpx_le_i32_e64 s17, v12
	s_cbranch_execz .LBB38_10
; %bb.7:                                ;   in Loop: Header=BB38_6 Depth=1
	s_mov_b32 s2, 0
.LBB38_8:                               ;   Parent Loop BB38_6 Depth=1
                                        ; =>  This Inner Loop Header: Depth=2
	v_subrev_nc_u32_e32 v12, s17, v12
	v_add_nc_u32_e32 v10, 1, v10
	s_delay_alu instid0(VALU_DEP_2) | instskip(SKIP_1) | instid1(SALU_CYCLE_1)
	v_cmp_gt_i32_e64 s0, s17, v12
	s_or_b32 s2, s0, s2
	s_and_not1_b32 exec_lo, exec_lo, s2
	s_cbranch_execnz .LBB38_8
; %bb.9:                                ;   in Loop: Header=BB38_6 Depth=1
	s_or_b32 exec_lo, exec_lo, s2
.LBB38_10:                              ;   in Loop: Header=BB38_6 Depth=1
	s_delay_alu instid0(SALU_CYCLE_1) | instskip(SKIP_1) | instid1(VALU_DEP_1)
	s_or_b32 exec_lo, exec_lo, s1
	v_mad_u32 v2, v12, s11, s5
	v_cmp_lt_i32_e64 s0, -1, v2
	v_cmp_gt_i32_e64 s1, s13, v2
	s_and_b32 s0, s0, s1
	s_delay_alu instid0(SALU_CYCLE_1)
	s_and_saveexec_b32 s22, s0
	s_cbranch_execz .LBB38_5
; %bb.11:                               ;   in Loop: Header=BB38_6 Depth=1
	s_and_saveexec_b32 s23, vcc_lo
	s_cbranch_execz .LBB38_4
; %bb.12:                               ;   in Loop: Header=BB38_6 Depth=1
	v_mul_lo_u32 v6, s4, v10
	v_mul_lo_u32 v8, s24, v10
	;; [unrolled: 1-line block ×4, first 2 shown]
	v_dual_mov_b32 v5, v3 :: v_dual_mov_b32 v15, v11
	s_mov_b32 s25, 0
	s_delay_alu instid0(VALU_DEP_4) | instskip(NEXT) | instid1(VALU_DEP_3)
	v_dual_ashrrev_i32 v7, 31, v6 :: v_dual_ashrrev_i32 v9, 31, v8
	v_dual_ashrrev_i32 v17, 31, v16 :: v_dual_ashrrev_i32 v19, 31, v18
	s_delay_alu instid0(VALU_DEP_2) | instskip(NEXT) | instid1(VALU_DEP_3)
	v_lshl_add_u64 v[6:7], v[6:7], 1, s[30:31]
	v_lshl_add_u64 v[8:9], v[8:9], 1, s[34:35]
	s_delay_alu instid0(VALU_DEP_2) | instskip(NEXT) | instid1(VALU_DEP_2)
	v_lshl_add_u64 v[16:17], v[16:17], 1, v[6:7]
	v_lshl_add_u64 v[6:7], v[18:19], 1, v[8:9]
	s_delay_alu instid0(VALU_DEP_2)
	v_add_nc_u64_e32 v[8:9], v[16:17], v[4:5]
	v_mov_b32_e32 v5, v14
	s_branch .LBB38_14
.LBB38_13:                              ;   in Loop: Header=BB38_14 Depth=2
	s_or_b32 exec_lo, exec_lo, s1
	v_cmp_le_i32_e64 s0, s18, v15
	v_add_nc_u64_e32 v[8:9], 64, v[8:9]
	s_wait_loadcnt 0x0
	v_fma_mix_f32 v13, v2, v16, v13 op_sel_hi:[0,1,0]
	s_or_b32 s25, s0, s25
	s_delay_alu instid0(SALU_CYCLE_1)
	s_and_not1_b32 exec_lo, exec_lo, s25
	s_cbranch_execz .LBB38_3
.LBB38_14:                              ;   Parent Loop BB38_6 Depth=1
                                        ; =>  This Loop Header: Depth=2
                                        ;       Child Loop BB38_20 Depth 3
	global_load_u16 v16, v[8:9], off
	v_dual_mov_b32 v2, 0 :: v_dual_add_nc_u32 v17, s20, v5
	s_mov_b32 s40, exec_lo
	s_wait_xcnt 0x0
	s_delay_alu instid0(VALU_DEP_1)
	v_cmpx_lt_i32_e32 -1, v17
	s_cbranch_execz .LBB38_18
; %bb.15:                               ;   in Loop: Header=BB38_14 Depth=2
	v_dual_add_nc_u32 v18, s21, v15 :: v_dual_mov_b32 v2, 0
	v_cmp_gt_i32_e64 s0, s15, v17
	s_delay_alu instid0(VALU_DEP_2) | instskip(SKIP_2) | instid1(SALU_CYCLE_1)
	v_cmp_gt_i32_e64 s1, s14, v18
	v_cmp_lt_i32_e64 s2, -1, v18
	s_and_b32 s0, s0, s1
	s_and_b32 s1, s0, s2
	s_delay_alu instid0(SALU_CYCLE_1)
	s_and_saveexec_b32 s0, s1
	s_cbranch_execz .LBB38_17
; %bb.16:                               ;   in Loop: Header=BB38_14 Depth=2
	v_mad_u32 v2, v18, s15, v17
	s_delay_alu instid0(VALU_DEP_1)
	v_lshl_add_u64 v[18:19], v[2:3], 1, v[6:7]
	global_load_u16 v2, v[18:19], off
	s_wait_loadcnt 0x0
	v_cvt_f32_f16_e32 v2, v2
.LBB38_17:                              ;   in Loop: Header=BB38_14 Depth=2
	s_or_b32 exec_lo, exec_lo, s0
.LBB38_18:                              ;   in Loop: Header=BB38_14 Depth=2
	s_delay_alu instid0(SALU_CYCLE_1) | instskip(SKIP_2) | instid1(VALU_DEP_1)
	s_or_b32 exec_lo, exec_lo, s40
	v_add_nc_u32_e32 v5, 32, v5
	s_mov_b32 s1, exec_lo
	v_cmpx_le_i32_e64 s19, v5
	s_cbranch_execz .LBB38_13
; %bb.19:                               ;   in Loop: Header=BB38_14 Depth=2
	s_mov_b32 s2, 0
.LBB38_20:                              ;   Parent Loop BB38_6 Depth=1
                                        ;     Parent Loop BB38_14 Depth=2
                                        ; =>    This Inner Loop Header: Depth=3
	v_subrev_nc_u32_e32 v5, s19, v5
	v_add_nc_u32_e32 v15, 1, v15
	s_delay_alu instid0(VALU_DEP_2) | instskip(SKIP_1) | instid1(SALU_CYCLE_1)
	v_cmp_gt_i32_e64 s0, s19, v5
	s_or_b32 s2, s0, s2
	s_and_not1_b32 exec_lo, exec_lo, s2
	s_cbranch_execnz .LBB38_20
; %bb.21:                               ;   in Loop: Header=BB38_14 Depth=2
	s_or_b32 exec_lo, exec_lo, s2
	s_branch .LBB38_13
.LBB38_22:
	s_or_b32 exec_lo, exec_lo, s39
	v_cvt_f16_f32_e32 v2, v13
.LBB38_23:
	s_or_b32 exec_lo, exec_lo, s38
	s_load_b64 s[0:1], s[28:29], 0x0
	v_lshl_add_u32 v1, v0, 1, 0
	s_bcnt1_i32_b32 s2, s36
	s_delay_alu instid0(SALU_CYCLE_1)
	s_cmp_lg_u32 s2, 1
	s_mov_b32 s2, -1
	ds_store_b16 v1, v2
	s_wait_dscnt 0x0
	s_barrier_signal -1
	s_barrier_wait -1
	s_cbranch_scc1 .LBB38_32
; %bb.24:
	s_and_not1_b32 vcc_lo, exec_lo, s2
	s_cbranch_vccnz .LBB38_28
.LBB38_25:
	s_cmp_lt_u32 s36, 2
	s_cbranch_scc0 .LBB38_30
.LBB38_26:
	s_mov_b32 s2, exec_lo
	v_cmpx_eq_u32_e32 0, v0
	s_cbranch_execz .LBB38_28
; %bb.27:
	s_mul_i32 s2, s7, s27
	s_mul_i32 s4, s8, s33
	s_ashr_i32 s3, s2, 31
	s_ashr_i32 s5, s4, 31
	s_lshl_b64 s[2:3], s[2:3], 1
	s_wait_kmcnt 0x0
	s_add_nc_u64 s[0:1], s[0:1], s[2:3]
	s_lshl_b64 s[2:3], s[4:5], 1
	s_mul_i32 s4, s10, s12
	s_delay_alu instid0(SALU_CYCLE_1) | instskip(SKIP_4) | instid1(SALU_CYCLE_1)
	v_dual_mov_b32 v0, 0 :: v_dual_mov_b32 v1, s4
	s_add_nc_u64 s[0:1], s[0:1], s[2:3]
	s_mul_i32 s2, s9, s16
	ds_load_u16 v0, v0
	s_ashr_i32 s3, s2, 31
	s_lshl_b64 s[2:3], s[2:3], 1
	s_delay_alu instid0(SALU_CYCLE_1)
	s_add_nc_u64 s[0:1], s[0:1], s[2:3]
	s_wait_dscnt 0x0
	global_store_b16 v1, v0, s[0:1] scale_offset
.LBB38_28:
	s_endpgm
.LBB38_29:                              ;   in Loop: Header=BB38_30 Depth=1
	s_or_b32 exec_lo, exec_lo, s3
	s_cmp_lt_u32 s36, 4
	s_mov_b32 s36, s2
	s_wait_dscnt 0x0
	s_barrier_signal -1
	s_barrier_wait -1
	s_cbranch_scc1 .LBB38_26
.LBB38_30:                              ; =>This Inner Loop Header: Depth=1
	s_lshr_b32 s2, s36, 1
	s_mov_b32 s3, exec_lo
	v_cmpx_gt_u32_e64 s2, v0
	s_cbranch_execz .LBB38_29
; %bb.31:                               ;   in Loop: Header=BB38_30 Depth=1
	v_lshl_add_u32 v2, s2, 1, v1
	ds_load_u16 v2, v2
	ds_load_u16 v3, v1
	s_wait_dscnt 0x0
	v_add_f16_e32 v2, v2, v3
	ds_store_b16 v1, v2
	s_branch .LBB38_29
.LBB38_32:
	s_trap 2
	; divergent unreachable
	s_cbranch_execz .LBB38_25
	s_branch .LBB38_28
	.section	.rodata,"a",@progbits
	.p2align	6, 0x0
	.amdhsa_kernel _ZN2at6native12_GLOBAL__N_144conv_depthwise3d_cuda_backward_weight_kernelIN3c104HalfEfLi1ELi1EEEvN5torch10headeronly6detail27GenericPackedTensorAccessorINS7_14TensorAccessorINS3_8ArrayRefIlEEKT_Lm4ENS6_16DefaultPtrTraitsEiEENS_6detail16IndexBoundsCheckILm5EiEESD_Lm5ESE_iEESJ_NS8_INS9_ISB_SC_Lm4ESE_iEESI_SC_Lm5ESE_iEEiiiiiiiii
		.amdhsa_group_segment_fixed_size 0
		.amdhsa_private_segment_fixed_size 0
		.amdhsa_kernarg_size 440
		.amdhsa_user_sgpr_count 2
		.amdhsa_user_sgpr_dispatch_ptr 0
		.amdhsa_user_sgpr_queue_ptr 0
		.amdhsa_user_sgpr_kernarg_segment_ptr 1
		.amdhsa_user_sgpr_dispatch_id 0
		.amdhsa_user_sgpr_kernarg_preload_length 0
		.amdhsa_user_sgpr_kernarg_preload_offset 0
		.amdhsa_user_sgpr_private_segment_size 0
		.amdhsa_wavefront_size32 1
		.amdhsa_uses_dynamic_stack 0
		.amdhsa_enable_private_segment 0
		.amdhsa_system_sgpr_workgroup_id_x 1
		.amdhsa_system_sgpr_workgroup_id_y 0
		.amdhsa_system_sgpr_workgroup_id_z 0
		.amdhsa_system_sgpr_workgroup_info 0
		.amdhsa_system_vgpr_workitem_id 0
		.amdhsa_next_free_vgpr 20
		.amdhsa_next_free_sgpr 46
		.amdhsa_named_barrier_count 0
		.amdhsa_reserve_vcc 1
		.amdhsa_float_round_mode_32 0
		.amdhsa_float_round_mode_16_64 0
		.amdhsa_float_denorm_mode_32 3
		.amdhsa_float_denorm_mode_16_64 3
		.amdhsa_fp16_overflow 0
		.amdhsa_memory_ordered 1
		.amdhsa_forward_progress 1
		.amdhsa_inst_pref_size 17
		.amdhsa_round_robin_scheduling 0
		.amdhsa_exception_fp_ieee_invalid_op 0
		.amdhsa_exception_fp_denorm_src 0
		.amdhsa_exception_fp_ieee_div_zero 0
		.amdhsa_exception_fp_ieee_overflow 0
		.amdhsa_exception_fp_ieee_underflow 0
		.amdhsa_exception_fp_ieee_inexact 0
		.amdhsa_exception_int_div_zero 0
	.end_amdhsa_kernel
	.section	.text._ZN2at6native12_GLOBAL__N_144conv_depthwise3d_cuda_backward_weight_kernelIN3c104HalfEfLi1ELi1EEEvN5torch10headeronly6detail27GenericPackedTensorAccessorINS7_14TensorAccessorINS3_8ArrayRefIlEEKT_Lm4ENS6_16DefaultPtrTraitsEiEENS_6detail16IndexBoundsCheckILm5EiEESD_Lm5ESE_iEESJ_NS8_INS9_ISB_SC_Lm4ESE_iEESI_SC_Lm5ESE_iEEiiiiiiiii,"axG",@progbits,_ZN2at6native12_GLOBAL__N_144conv_depthwise3d_cuda_backward_weight_kernelIN3c104HalfEfLi1ELi1EEEvN5torch10headeronly6detail27GenericPackedTensorAccessorINS7_14TensorAccessorINS3_8ArrayRefIlEEKT_Lm4ENS6_16DefaultPtrTraitsEiEENS_6detail16IndexBoundsCheckILm5EiEESD_Lm5ESE_iEESJ_NS8_INS9_ISB_SC_Lm4ESE_iEESI_SC_Lm5ESE_iEEiiiiiiiii,comdat
.Lfunc_end38:
	.size	_ZN2at6native12_GLOBAL__N_144conv_depthwise3d_cuda_backward_weight_kernelIN3c104HalfEfLi1ELi1EEEvN5torch10headeronly6detail27GenericPackedTensorAccessorINS7_14TensorAccessorINS3_8ArrayRefIlEEKT_Lm4ENS6_16DefaultPtrTraitsEiEENS_6detail16IndexBoundsCheckILm5EiEESD_Lm5ESE_iEESJ_NS8_INS9_ISB_SC_Lm4ESE_iEESI_SC_Lm5ESE_iEEiiiiiiiii, .Lfunc_end38-_ZN2at6native12_GLOBAL__N_144conv_depthwise3d_cuda_backward_weight_kernelIN3c104HalfEfLi1ELi1EEEvN5torch10headeronly6detail27GenericPackedTensorAccessorINS7_14TensorAccessorINS3_8ArrayRefIlEEKT_Lm4ENS6_16DefaultPtrTraitsEiEENS_6detail16IndexBoundsCheckILm5EiEESD_Lm5ESE_iEESJ_NS8_INS9_ISB_SC_Lm4ESE_iEESI_SC_Lm5ESE_iEEiiiiiiiii
                                        ; -- End function
	.set _ZN2at6native12_GLOBAL__N_144conv_depthwise3d_cuda_backward_weight_kernelIN3c104HalfEfLi1ELi1EEEvN5torch10headeronly6detail27GenericPackedTensorAccessorINS7_14TensorAccessorINS3_8ArrayRefIlEEKT_Lm4ENS6_16DefaultPtrTraitsEiEENS_6detail16IndexBoundsCheckILm5EiEESD_Lm5ESE_iEESJ_NS8_INS9_ISB_SC_Lm4ESE_iEESI_SC_Lm5ESE_iEEiiiiiiiii.num_vgpr, 20
	.set _ZN2at6native12_GLOBAL__N_144conv_depthwise3d_cuda_backward_weight_kernelIN3c104HalfEfLi1ELi1EEEvN5torch10headeronly6detail27GenericPackedTensorAccessorINS7_14TensorAccessorINS3_8ArrayRefIlEEKT_Lm4ENS6_16DefaultPtrTraitsEiEENS_6detail16IndexBoundsCheckILm5EiEESD_Lm5ESE_iEESJ_NS8_INS9_ISB_SC_Lm4ESE_iEESI_SC_Lm5ESE_iEEiiiiiiiii.num_agpr, 0
	.set _ZN2at6native12_GLOBAL__N_144conv_depthwise3d_cuda_backward_weight_kernelIN3c104HalfEfLi1ELi1EEEvN5torch10headeronly6detail27GenericPackedTensorAccessorINS7_14TensorAccessorINS3_8ArrayRefIlEEKT_Lm4ENS6_16DefaultPtrTraitsEiEENS_6detail16IndexBoundsCheckILm5EiEESD_Lm5ESE_iEESJ_NS8_INS9_ISB_SC_Lm4ESE_iEESI_SC_Lm5ESE_iEEiiiiiiiii.numbered_sgpr, 46
	.set _ZN2at6native12_GLOBAL__N_144conv_depthwise3d_cuda_backward_weight_kernelIN3c104HalfEfLi1ELi1EEEvN5torch10headeronly6detail27GenericPackedTensorAccessorINS7_14TensorAccessorINS3_8ArrayRefIlEEKT_Lm4ENS6_16DefaultPtrTraitsEiEENS_6detail16IndexBoundsCheckILm5EiEESD_Lm5ESE_iEESJ_NS8_INS9_ISB_SC_Lm4ESE_iEESI_SC_Lm5ESE_iEEiiiiiiiii.num_named_barrier, 0
	.set _ZN2at6native12_GLOBAL__N_144conv_depthwise3d_cuda_backward_weight_kernelIN3c104HalfEfLi1ELi1EEEvN5torch10headeronly6detail27GenericPackedTensorAccessorINS7_14TensorAccessorINS3_8ArrayRefIlEEKT_Lm4ENS6_16DefaultPtrTraitsEiEENS_6detail16IndexBoundsCheckILm5EiEESD_Lm5ESE_iEESJ_NS8_INS9_ISB_SC_Lm4ESE_iEESI_SC_Lm5ESE_iEEiiiiiiiii.private_seg_size, 0
	.set _ZN2at6native12_GLOBAL__N_144conv_depthwise3d_cuda_backward_weight_kernelIN3c104HalfEfLi1ELi1EEEvN5torch10headeronly6detail27GenericPackedTensorAccessorINS7_14TensorAccessorINS3_8ArrayRefIlEEKT_Lm4ENS6_16DefaultPtrTraitsEiEENS_6detail16IndexBoundsCheckILm5EiEESD_Lm5ESE_iEESJ_NS8_INS9_ISB_SC_Lm4ESE_iEESI_SC_Lm5ESE_iEEiiiiiiiii.uses_vcc, 1
	.set _ZN2at6native12_GLOBAL__N_144conv_depthwise3d_cuda_backward_weight_kernelIN3c104HalfEfLi1ELi1EEEvN5torch10headeronly6detail27GenericPackedTensorAccessorINS7_14TensorAccessorINS3_8ArrayRefIlEEKT_Lm4ENS6_16DefaultPtrTraitsEiEENS_6detail16IndexBoundsCheckILm5EiEESD_Lm5ESE_iEESJ_NS8_INS9_ISB_SC_Lm4ESE_iEESI_SC_Lm5ESE_iEEiiiiiiiii.uses_flat_scratch, 0
	.set _ZN2at6native12_GLOBAL__N_144conv_depthwise3d_cuda_backward_weight_kernelIN3c104HalfEfLi1ELi1EEEvN5torch10headeronly6detail27GenericPackedTensorAccessorINS7_14TensorAccessorINS3_8ArrayRefIlEEKT_Lm4ENS6_16DefaultPtrTraitsEiEENS_6detail16IndexBoundsCheckILm5EiEESD_Lm5ESE_iEESJ_NS8_INS9_ISB_SC_Lm4ESE_iEESI_SC_Lm5ESE_iEEiiiiiiiii.has_dyn_sized_stack, 0
	.set _ZN2at6native12_GLOBAL__N_144conv_depthwise3d_cuda_backward_weight_kernelIN3c104HalfEfLi1ELi1EEEvN5torch10headeronly6detail27GenericPackedTensorAccessorINS7_14TensorAccessorINS3_8ArrayRefIlEEKT_Lm4ENS6_16DefaultPtrTraitsEiEENS_6detail16IndexBoundsCheckILm5EiEESD_Lm5ESE_iEESJ_NS8_INS9_ISB_SC_Lm4ESE_iEESI_SC_Lm5ESE_iEEiiiiiiiii.has_recursion, 0
	.set _ZN2at6native12_GLOBAL__N_144conv_depthwise3d_cuda_backward_weight_kernelIN3c104HalfEfLi1ELi1EEEvN5torch10headeronly6detail27GenericPackedTensorAccessorINS7_14TensorAccessorINS3_8ArrayRefIlEEKT_Lm4ENS6_16DefaultPtrTraitsEiEENS_6detail16IndexBoundsCheckILm5EiEESD_Lm5ESE_iEESJ_NS8_INS9_ISB_SC_Lm4ESE_iEESI_SC_Lm5ESE_iEEiiiiiiiii.has_indirect_call, 0
	.section	.AMDGPU.csdata,"",@progbits
; Kernel info:
; codeLenInByte = 2100
; TotalNumSgprs: 48
; NumVgprs: 20
; ScratchSize: 0
; MemoryBound: 0
; FloatMode: 240
; IeeeMode: 1
; LDSByteSize: 0 bytes/workgroup (compile time only)
; SGPRBlocks: 0
; VGPRBlocks: 1
; NumSGPRsForWavesPerEU: 48
; NumVGPRsForWavesPerEU: 20
; NamedBarCnt: 0
; Occupancy: 16
; WaveLimiterHint : 1
; COMPUTE_PGM_RSRC2:SCRATCH_EN: 0
; COMPUTE_PGM_RSRC2:USER_SGPR: 2
; COMPUTE_PGM_RSRC2:TRAP_HANDLER: 0
; COMPUTE_PGM_RSRC2:TGID_X_EN: 1
; COMPUTE_PGM_RSRC2:TGID_Y_EN: 0
; COMPUTE_PGM_RSRC2:TGID_Z_EN: 0
; COMPUTE_PGM_RSRC2:TIDIG_COMP_CNT: 0
	.section	.text._ZN2at6native12_GLOBAL__N_144conv_depthwise3d_cuda_backward_weight_kernelIN3c104HalfEfLi2ELi2EEEvN5torch10headeronly6detail27GenericPackedTensorAccessorINS7_14TensorAccessorINS3_8ArrayRefIlEEKT_Lm4ENS6_16DefaultPtrTraitsEiEENS_6detail16IndexBoundsCheckILm5EiEESD_Lm5ESE_iEESJ_NS8_INS9_ISB_SC_Lm4ESE_iEESI_SC_Lm5ESE_iEEiiiiiiiii,"axG",@progbits,_ZN2at6native12_GLOBAL__N_144conv_depthwise3d_cuda_backward_weight_kernelIN3c104HalfEfLi2ELi2EEEvN5torch10headeronly6detail27GenericPackedTensorAccessorINS7_14TensorAccessorINS3_8ArrayRefIlEEKT_Lm4ENS6_16DefaultPtrTraitsEiEENS_6detail16IndexBoundsCheckILm5EiEESD_Lm5ESE_iEESJ_NS8_INS9_ISB_SC_Lm4ESE_iEESI_SC_Lm5ESE_iEEiiiiiiiii,comdat
	.globl	_ZN2at6native12_GLOBAL__N_144conv_depthwise3d_cuda_backward_weight_kernelIN3c104HalfEfLi2ELi2EEEvN5torch10headeronly6detail27GenericPackedTensorAccessorINS7_14TensorAccessorINS3_8ArrayRefIlEEKT_Lm4ENS6_16DefaultPtrTraitsEiEENS_6detail16IndexBoundsCheckILm5EiEESD_Lm5ESE_iEESJ_NS8_INS9_ISB_SC_Lm4ESE_iEESI_SC_Lm5ESE_iEEiiiiiiiii ; -- Begin function _ZN2at6native12_GLOBAL__N_144conv_depthwise3d_cuda_backward_weight_kernelIN3c104HalfEfLi2ELi2EEEvN5torch10headeronly6detail27GenericPackedTensorAccessorINS7_14TensorAccessorINS3_8ArrayRefIlEEKT_Lm4ENS6_16DefaultPtrTraitsEiEENS_6detail16IndexBoundsCheckILm5EiEESD_Lm5ESE_iEESJ_NS8_INS9_ISB_SC_Lm4ESE_iEESI_SC_Lm5ESE_iEEiiiiiiiii
	.p2align	8
	.type	_ZN2at6native12_GLOBAL__N_144conv_depthwise3d_cuda_backward_weight_kernelIN3c104HalfEfLi2ELi2EEEvN5torch10headeronly6detail27GenericPackedTensorAccessorINS7_14TensorAccessorINS3_8ArrayRefIlEEKT_Lm4ENS6_16DefaultPtrTraitsEiEENS_6detail16IndexBoundsCheckILm5EiEESD_Lm5ESE_iEESJ_NS8_INS9_ISB_SC_Lm4ESE_iEESI_SC_Lm5ESE_iEEiiiiiiiii,@function
_ZN2at6native12_GLOBAL__N_144conv_depthwise3d_cuda_backward_weight_kernelIN3c104HalfEfLi2ELi2EEEvN5torch10headeronly6detail27GenericPackedTensorAccessorINS7_14TensorAccessorINS3_8ArrayRefIlEEKT_Lm4ENS6_16DefaultPtrTraitsEiEENS_6detail16IndexBoundsCheckILm5EiEESD_Lm5ESE_iEESJ_NS8_INS9_ISB_SC_Lm4ESE_iEESI_SC_Lm5ESE_iEEiiiiiiiii: ; @_ZN2at6native12_GLOBAL__N_144conv_depthwise3d_cuda_backward_weight_kernelIN3c104HalfEfLi2ELi2EEEvN5torch10headeronly6detail27GenericPackedTensorAccessorINS7_14TensorAccessorINS3_8ArrayRefIlEEKT_Lm4ENS6_16DefaultPtrTraitsEiEENS_6detail16IndexBoundsCheckILm5EiEESD_Lm5ESE_iEESJ_NS8_INS9_ISB_SC_Lm4ESE_iEESI_SC_Lm5ESE_iEEiiiiiiiii
; %bb.0:
	s_load_b128 s[4:7], s[0:1], 0x70
	s_and_b32 s8, ttmp6, 15
	s_getreg_b32 s9, hwreg(HW_REG_IB_STS2, 6, 4)
	s_load_b128 s[16:19], s[0:1], 0xc
	s_wait_kmcnt 0x0
	s_cvt_f32_u32 s2, s6
	s_delay_alu instid0(SALU_CYCLE_3) | instskip(SKIP_1) | instid1(SALU_CYCLE_1)
	v_rcp_iflag_f32_e32 v1, s2
	s_bfe_u32 s2, ttmp6, 0x4000c
	s_add_co_i32 s2, s2, 1
	s_delay_alu instid0(SALU_CYCLE_1) | instskip(SKIP_1) | instid1(TRANS32_DEP_1)
	s_mul_i32 s2, ttmp9, s2
	v_nop
	v_readfirstlane_b32 s3, v1
	s_add_co_i32 s8, s8, s2
	s_cmp_eq_u32 s9, 0
	s_cselect_b32 s2, ttmp9, s8
	s_mul_f32 s3, s3, 0x4f7ffffe
	s_cvt_f32_u32 s8, s5
	s_sub_co_i32 s9, 0, s6
	s_delay_alu instid0(SALU_CYCLE_1) | instskip(NEXT) | instid1(SALU_CYCLE_1)
	s_cvt_u32_f32 s3, s3
	v_rcp_iflag_f32_e32 v1, s8
	s_delay_alu instid0(SALU_CYCLE_2) | instskip(NEXT) | instid1(SALU_CYCLE_1)
	s_mul_i32 s9, s9, s3
	s_mul_hi_u32 s8, s3, s9
	s_delay_alu instid0(SALU_CYCLE_1) | instskip(SKIP_1) | instid1(TRANS32_DEP_1)
	s_add_co_i32 s3, s3, s8
	v_nop
	v_readfirstlane_b32 s10, v1
	s_mul_hi_u32 s3, s2, s3
	s_cvt_f32_u32 s8, s4
	s_mul_i32 s9, s3, s6
	s_add_co_i32 s11, s3, 1
	s_sub_co_i32 s9, s2, s9
	s_mul_f32 s10, s10, 0x4f7ffffe
	s_sub_co_i32 s12, s9, s6
	s_cmp_ge_u32 s9, s6
	v_rcp_iflag_f32_e32 v1, s8
	s_cselect_b32 s3, s11, s3
	s_cselect_b32 s9, s12, s9
	s_add_co_i32 s11, s3, 1
	s_cmp_ge_u32 s9, s6
	s_cvt_u32_f32 s9, s10
	s_cselect_b32 s20, s11, s3
	s_sub_co_i32 s3, 0, s5
	s_load_b128 s[12:15], s[0:1], 0x3c
	s_mul_i32 s3, s3, s9
	s_delay_alu instid0(SALU_CYCLE_1) | instskip(NEXT) | instid1(SALU_CYCLE_1)
	s_mul_hi_u32 s3, s9, s3
	s_add_co_i32 s9, s9, s3
	s_delay_alu instid0(SALU_CYCLE_1)
	s_mul_hi_u32 s3, s20, s9
	v_nop
	v_readfirstlane_b32 s9, v1
	s_mul_i32 s8, s3, s5
	s_add_co_i32 s10, s3, 1
	s_sub_co_i32 s8, s20, s8
	s_delay_alu instid0(SALU_CYCLE_1)
	s_sub_co_i32 s11, s8, s5
	s_cmp_ge_u32 s8, s5
	s_mul_f32 s9, s9, 0x4f7ffffe
	s_cselect_b32 s3, s10, s3
	s_cselect_b32 s8, s11, s8
	s_add_co_i32 s10, s3, 1
	s_cmp_ge_u32 s8, s5
	s_cvt_u32_f32 s8, s9
	s_cselect_b32 s21, s10, s3
	s_sub_co_i32 s3, 0, s4
	s_delay_alu instid0(SALU_CYCLE_1) | instskip(NEXT) | instid1(SALU_CYCLE_1)
	s_mul_i32 s3, s3, s8
	s_mul_hi_u32 s3, s8, s3
	s_delay_alu instid0(SALU_CYCLE_1) | instskip(NEXT) | instid1(SALU_CYCLE_1)
	s_add_co_i32 s8, s8, s3
	s_mul_hi_u32 s3, s21, s8
	s_delay_alu instid0(SALU_CYCLE_1) | instskip(SKIP_2) | instid1(SALU_CYCLE_1)
	s_mul_i32 s8, s3, s4
	s_add_co_i32 s9, s3, 1
	s_sub_co_i32 s8, s21, s8
	s_sub_co_i32 s10, s8, s4
	s_cmp_ge_u32 s8, s4
	s_cselect_b32 s3, s9, s3
	s_cselect_b32 s8, s10, s8
	s_add_co_i32 s9, s3, 1
	s_cmp_ge_u32 s8, s4
	s_cselect_b32 s27, s9, s3
	s_wait_kmcnt 0x0
	s_abs_i32 s3, s12
	s_abs_i32 s10, s16
	s_cvt_f32_u32 s8, s3
	s_sub_co_i32 s9, 0, s3
	s_delay_alu instid0(SALU_CYCLE_2) | instskip(SKIP_1) | instid1(TRANS32_DEP_1)
	v_rcp_iflag_f32_e32 v1, s8
	v_nop
	v_readfirstlane_b32 s8, v1
	s_mul_f32 s8, s8, 0x4f7ffffe
	s_delay_alu instid0(SALU_CYCLE_3) | instskip(NEXT) | instid1(SALU_CYCLE_3)
	s_cvt_u32_f32 s8, s8
	s_mul_i32 s9, s9, s8
	s_delay_alu instid0(SALU_CYCLE_1) | instskip(NEXT) | instid1(SALU_CYCLE_1)
	s_mul_hi_u32 s9, s8, s9
	s_add_co_i32 s8, s8, s9
	s_xor_b32 s9, s16, s12
	s_mul_hi_u32 s8, s10, s8
	s_ashr_i32 s9, s9, 31
	s_mul_i32 s11, s8, s3
	s_delay_alu instid0(SALU_CYCLE_1)
	s_sub_co_i32 s10, s10, s11
	s_add_co_i32 s11, s8, 1
	s_sub_co_i32 s12, s10, s3
	s_cmp_ge_u32 s10, s3
	s_cselect_b32 s8, s11, s8
	s_cselect_b32 s10, s12, s10
	s_add_co_i32 s11, s8, 1
	s_cmp_ge_u32 s10, s3
	s_cselect_b32 s3, s11, s8
	s_load_b32 s8, s[0:1], 0x68
	s_xor_b32 s3, s3, s9
	s_delay_alu instid0(SALU_CYCLE_1) | instskip(NEXT) | instid1(SALU_CYCLE_1)
	s_sub_co_i32 s23, s3, s9
	s_abs_i32 s22, s23
	s_delay_alu instid0(SALU_CYCLE_1) | instskip(NEXT) | instid1(SALU_CYCLE_3)
	s_cvt_f32_u32 s3, s22
	v_rcp_iflag_f32_e32 v1, s3
	s_mov_b32 s3, 0
	v_nop
	s_delay_alu instid0(TRANS32_DEP_1)
	v_readfirstlane_b32 s24, v1
	s_wait_kmcnt 0x0
	s_cmp_ge_i32 s27, s8
	s_cbranch_scc1 .LBB39_28
; %bb.1:
	s_load_b32 s37, s[0:1], 0x38
	s_add_nc_u64 s[28:29], s[0:1], 0x60
	s_load_b32 s25, s[0:1], 0xc4
	s_load_b128 s[8:11], s[28:29], 0x24
	v_dual_mov_b32 v2, 0 :: v_dual_lshrrev_b32 v1, 5, v0
	s_mul_i32 s6, s20, s6
	s_mul_i32 s5, s21, s5
	;; [unrolled: 1-line block ×3, first 2 shown]
	s_sub_co_i32 s12, s2, s6
	s_sub_co_i32 s16, s20, s5
	;; [unrolled: 1-line block ×3, first 2 shown]
	s_mov_b32 s38, exec_lo
	s_wait_kmcnt 0x0
	s_mul_i32 s37, s37, s17
	s_and_b32 s36, s25, 0xffff
	v_cmpx_gt_i32_e64 s37, v1
	s_cbranch_execz .LBB39_23
; %bb.2:
	s_mul_f32 s2, s24, 0x4f7ffffe
	s_ashr_i32 s6, s27, 31
	s_mov_b32 s39, 0
	v_mov_b32_e32 v13, 0
	s_cvt_u32_f32 s4, s2
	s_sub_co_i32 s2, 0, s22
	s_delay_alu instid0(SALU_CYCLE_2)
	s_mul_i32 s5, s2, s4
	s_abs_i32 s2, s27
	s_mul_hi_u32 s20, s4, s5
	s_mov_b32 s5, s3
	s_add_co_i32 s4, s4, s20
	s_ashr_i32 s20, s23, 31
	s_mul_u64 s[4:5], s[2:3], s[4:5]
	s_lshr_b32 s3, s36, 5
	s_mul_i32 s4, s5, s22
	s_xor_b32 s42, s6, s20
	s_sub_co_i32 s2, s2, s4
	s_add_co_i32 s4, s5, 1
	s_sub_co_i32 s6, s2, s22
	s_cmp_ge_u32 s2, s22
	s_cselect_b32 s4, s4, s5
	s_cselect_b32 s2, s6, s2
	s_add_co_i32 s5, s4, 1
	s_cmp_ge_u32 s2, s22
	s_clause 0x1
	s_load_b128 s[20:23], s[0:1], 0x9c
	s_load_b64 s[40:41], s[0:1], 0xac
	s_cselect_b32 s43, s5, s4
	s_abs_i32 s44, s17
	s_abs_i32 s45, s19
	s_cvt_f32_u32 s2, s44
	s_cvt_f32_u32 s4, s45
	s_sub_co_i32 s5, 0, s44
	s_sub_co_i32 s6, 0, s45
	v_rcp_iflag_f32_e32 v2, s2
	v_rcp_iflag_f32_e32 v3, s4
	s_delay_alu instid0(TRANS32_DEP_2) | instskip(NEXT) | instid1(TRANS32_DEP_1)
	v_readfirstlane_b32 s2, v2
	v_readfirstlane_b32 s4, v3
	s_wait_kmcnt 0x0
	s_mul_i32 s23, s33, s23
	s_mul_f32 s2, s2, 0x4f7ffffe
	s_mul_f32 s4, s4, 0x4f7ffffe
	s_delay_alu instid0(SALU_CYCLE_2) | instskip(NEXT) | instid1(SALU_CYCLE_2)
	s_cvt_u32_f32 s2, s2
	s_cvt_u32_f32 s4, s4
	s_delay_alu instid0(SALU_CYCLE_2) | instskip(NEXT) | instid1(SALU_CYCLE_2)
	s_mul_i32 s5, s5, s2
	s_mul_i32 s6, s6, s4
	s_mul_hi_u32 s5, s2, s5
	s_delay_alu instid0(SALU_CYCLE_1) | instskip(SKIP_4) | instid1(VALU_DEP_2)
	s_add_co_i32 s2, s2, s5
	s_mul_hi_u32 s5, s4, s6
	v_mul_hi_u32 v3, v1, s2
	v_and_b32_e32 v2, 31, v0
	s_add_co_i32 s4, s4, s5
	v_add_nc_u32_e32 v7, 1, v3
	s_delay_alu instid0(VALU_DEP_2)
	v_mul_hi_u32 v4, v2, s4
	v_mul_lo_u32 v5, v3, s44
	s_clause 0x3
	s_load_b64 s[30:31], s[0:1], 0x0
	s_load_b96 s[4:6], s[0:1], 0x1c
	s_load_b64 s[34:35], s[0:1], 0x30
	s_load_b96 s[24:26], s[0:1], 0x4c
	s_wait_xcnt 0x0
	s_ashr_i32 s1, s17, 31
	s_delay_alu instid0(VALU_DEP_2) | instskip(NEXT) | instid1(VALU_DEP_1)
	v_mul_lo_u32 v6, v4, s45
	v_dual_sub_nc_u32 v5, v1, v5 :: v_dual_sub_nc_u32 v6, v2, v6
	s_delay_alu instid0(VALU_DEP_1)
	v_cmp_le_u32_e32 vcc_lo, s44, v5
	v_add_nc_u32_e32 v8, 1, v4
	s_wait_kmcnt 0x0
	s_mul_i32 s0, s5, s27
	s_sub_co_i32 s5, s23, s20
	v_cmp_le_u32_e64 s2, s45, v6
	v_cndmask_b32_e32 v3, v3, v7, vcc_lo
	v_subrev_nc_u32_e32 v7, s44, v5
	v_subrev_nc_u32_e32 v9, s45, v6
	s_delay_alu instid0(VALU_DEP_2) | instskip(NEXT) | instid1(VALU_DEP_2)
	v_dual_cndmask_b32 v4, v4, v8, s2 :: v_dual_cndmask_b32 v5, v5, v7, vcc_lo
	v_dual_add_nc_u32 v7, 1, v3 :: v_dual_cndmask_b32 v6, v6, v9, s2
	s_ashr_i32 s2, s19, 31
	s_delay_alu instid0(VALU_DEP_2) | instskip(NEXT) | instid1(VALU_DEP_2)
	v_cmp_le_u32_e32 vcc_lo, s44, v5
	v_dual_cndmask_b32 v5, v3, v7 :: v_dual_add_nc_u32 v8, 1, v4
	s_delay_alu instid0(VALU_DEP_3) | instskip(NEXT) | instid1(VALU_DEP_2)
	v_cmp_le_u32_e32 vcc_lo, s45, v6
	v_dual_mov_b32 v3, 0 :: v_dual_bitop2_b32 v5, s1, v5 bitop3:0x14
	s_delay_alu instid0(VALU_DEP_3) | instskip(NEXT) | instid1(VALU_DEP_1)
	v_cndmask_b32_e32 v4, v4, v8, vcc_lo
	v_dual_lshlrev_b32 v4, 1, v2 :: v_dual_bitop2_b32 v6, s2, v4 bitop3:0x14
	s_delay_alu instid0(VALU_DEP_3) | instskip(SKIP_1) | instid1(SALU_CYCLE_1)
	v_subrev_nc_u32_e32 v10, s1, v5
	s_xor_b32 s1, s43, s42
	s_sub_co_i32 s1, s1, s42
	s_delay_alu instid0(VALU_DEP_1)
	v_mul_lo_u32 v5, v10, s17
	s_mul_i32 s42, s25, s1
	s_ashr_i32 s1, s0, 31
	s_ashr_i32 s43, s42, 31
	s_lshl_b64 s[0:1], s[0:1], 1
	s_lshl_b64 s[42:43], s[42:43], 1
	s_add_nc_u64 s[30:31], s[30:31], s[0:1]
	s_mul_i32 s0, s16, s40
	s_add_nc_u64 s[34:35], s[34:35], s[42:43]
	s_sub_co_i32 s21, s0, s21
	s_delay_alu instid0(VALU_DEP_1) | instskip(SKIP_2) | instid1(SALU_CYCLE_1)
	v_sub_nc_u32_e32 v12, v1, v5
	v_subrev_nc_u32_e32 v11, s2, v6
	s_mul_i32 s2, s12, s41
	s_sub_co_i32 s20, s2, s22
	s_delay_alu instid0(VALU_DEP_1) | instskip(SKIP_1) | instid1(VALU_DEP_2)
	v_mul_lo_u32 v6, v11, s19
	v_cmp_gt_i32_e32 vcc_lo, s18, v11
	v_sub_nc_u32_e32 v14, v2, v6
	s_branch .LBB39_6
.LBB39_3:                               ;   in Loop: Header=BB39_6 Depth=1
	s_or_b32 exec_lo, exec_lo, s25
.LBB39_4:                               ;   in Loop: Header=BB39_6 Depth=1
	s_delay_alu instid0(SALU_CYCLE_1)
	s_or_b32 exec_lo, exec_lo, s23
.LBB39_5:                               ;   in Loop: Header=BB39_6 Depth=1
	s_delay_alu instid0(SALU_CYCLE_1) | instskip(SKIP_1) | instid1(VALU_DEP_1)
	s_or_b32 exec_lo, exec_lo, s22
	v_dual_add_nc_u32 v1, s3, v1 :: v_dual_add_nc_u32 v12, s3, v12
	v_cmp_le_i32_e64 s0, s37, v1
	s_or_b32 s39, s0, s39
	s_delay_alu instid0(SALU_CYCLE_1)
	s_and_not1_b32 exec_lo, exec_lo, s39
	s_cbranch_execz .LBB39_22
.LBB39_6:                               ; =>This Loop Header: Depth=1
                                        ;     Child Loop BB39_8 Depth 2
                                        ;     Child Loop BB39_14 Depth 2
                                        ;       Child Loop BB39_20 Depth 3
	s_mov_b32 s1, exec_lo
	v_cmpx_le_i32_e64 s17, v12
	s_cbranch_execz .LBB39_10
; %bb.7:                                ;   in Loop: Header=BB39_6 Depth=1
	s_mov_b32 s2, 0
.LBB39_8:                               ;   Parent Loop BB39_6 Depth=1
                                        ; =>  This Inner Loop Header: Depth=2
	v_subrev_nc_u32_e32 v12, s17, v12
	v_add_nc_u32_e32 v10, 1, v10
	s_delay_alu instid0(VALU_DEP_2) | instskip(SKIP_1) | instid1(SALU_CYCLE_1)
	v_cmp_gt_i32_e64 s0, s17, v12
	s_or_b32 s2, s0, s2
	s_and_not1_b32 exec_lo, exec_lo, s2
	s_cbranch_execnz .LBB39_8
; %bb.9:                                ;   in Loop: Header=BB39_6 Depth=1
	s_or_b32 exec_lo, exec_lo, s2
.LBB39_10:                              ;   in Loop: Header=BB39_6 Depth=1
	s_delay_alu instid0(SALU_CYCLE_1) | instskip(SKIP_1) | instid1(VALU_DEP_1)
	s_or_b32 exec_lo, exec_lo, s1
	v_mad_u32 v2, v12, s11, s5
	v_cmp_lt_i32_e64 s0, -1, v2
	v_cmp_gt_i32_e64 s1, s13, v2
	s_and_b32 s0, s0, s1
	s_delay_alu instid0(SALU_CYCLE_1)
	s_and_saveexec_b32 s22, s0
	s_cbranch_execz .LBB39_5
; %bb.11:                               ;   in Loop: Header=BB39_6 Depth=1
	s_and_saveexec_b32 s23, vcc_lo
	s_cbranch_execz .LBB39_4
; %bb.12:                               ;   in Loop: Header=BB39_6 Depth=1
	v_mul_lo_u32 v6, s4, v10
	v_mul_lo_u32 v8, s24, v10
	;; [unrolled: 1-line block ×4, first 2 shown]
	v_dual_mov_b32 v5, v3 :: v_dual_mov_b32 v15, v11
	s_mov_b32 s25, 0
	s_delay_alu instid0(VALU_DEP_4) | instskip(NEXT) | instid1(VALU_DEP_3)
	v_dual_ashrrev_i32 v7, 31, v6 :: v_dual_ashrrev_i32 v9, 31, v8
	v_dual_ashrrev_i32 v17, 31, v16 :: v_dual_ashrrev_i32 v19, 31, v18
	s_delay_alu instid0(VALU_DEP_2) | instskip(NEXT) | instid1(VALU_DEP_3)
	v_lshl_add_u64 v[6:7], v[6:7], 1, s[30:31]
	v_lshl_add_u64 v[8:9], v[8:9], 1, s[34:35]
	s_delay_alu instid0(VALU_DEP_2) | instskip(NEXT) | instid1(VALU_DEP_2)
	v_lshl_add_u64 v[16:17], v[16:17], 1, v[6:7]
	v_lshl_add_u64 v[6:7], v[18:19], 1, v[8:9]
	s_delay_alu instid0(VALU_DEP_2)
	v_add_nc_u64_e32 v[8:9], v[16:17], v[4:5]
	v_mov_b32_e32 v5, v14
	s_branch .LBB39_14
.LBB39_13:                              ;   in Loop: Header=BB39_14 Depth=2
	s_or_b32 exec_lo, exec_lo, s1
	v_cmp_le_i32_e64 s0, s18, v15
	v_add_nc_u64_e32 v[8:9], 64, v[8:9]
	s_wait_loadcnt 0x0
	v_fma_mix_f32 v13, v2, v16, v13 op_sel_hi:[0,1,0]
	s_or_b32 s25, s0, s25
	s_delay_alu instid0(SALU_CYCLE_1)
	s_and_not1_b32 exec_lo, exec_lo, s25
	s_cbranch_execz .LBB39_3
.LBB39_14:                              ;   Parent Loop BB39_6 Depth=1
                                        ; =>  This Loop Header: Depth=2
                                        ;       Child Loop BB39_20 Depth 3
	global_load_u16 v16, v[8:9], off
	v_lshl_add_u32 v17, v5, 1, s20
	v_mov_b32_e32 v2, 0
	s_mov_b32 s40, exec_lo
	s_wait_xcnt 0x0
	s_delay_alu instid0(VALU_DEP_2)
	v_cmpx_lt_i32_e32 -1, v17
	s_cbranch_execz .LBB39_18
; %bb.15:                               ;   in Loop: Header=BB39_14 Depth=2
	v_lshl_add_u32 v18, v15, 1, s21
	v_cmp_gt_i32_e64 s0, s15, v17
	v_mov_b32_e32 v2, 0
	s_delay_alu instid0(VALU_DEP_3) | instskip(SKIP_2) | instid1(SALU_CYCLE_1)
	v_cmp_gt_i32_e64 s1, s14, v18
	v_cmp_lt_i32_e64 s2, -1, v18
	s_and_b32 s0, s0, s1
	s_and_b32 s1, s0, s2
	s_delay_alu instid0(SALU_CYCLE_1)
	s_and_saveexec_b32 s0, s1
	s_cbranch_execz .LBB39_17
; %bb.16:                               ;   in Loop: Header=BB39_14 Depth=2
	v_mad_u32 v2, v18, s15, v17
	s_delay_alu instid0(VALU_DEP_1)
	v_lshl_add_u64 v[18:19], v[2:3], 1, v[6:7]
	global_load_u16 v2, v[18:19], off
	s_wait_loadcnt 0x0
	v_cvt_f32_f16_e32 v2, v2
.LBB39_17:                              ;   in Loop: Header=BB39_14 Depth=2
	s_or_b32 exec_lo, exec_lo, s0
.LBB39_18:                              ;   in Loop: Header=BB39_14 Depth=2
	s_delay_alu instid0(SALU_CYCLE_1) | instskip(SKIP_2) | instid1(VALU_DEP_1)
	s_or_b32 exec_lo, exec_lo, s40
	v_add_nc_u32_e32 v5, 32, v5
	s_mov_b32 s1, exec_lo
	v_cmpx_le_i32_e64 s19, v5
	s_cbranch_execz .LBB39_13
; %bb.19:                               ;   in Loop: Header=BB39_14 Depth=2
	s_mov_b32 s2, 0
.LBB39_20:                              ;   Parent Loop BB39_6 Depth=1
                                        ;     Parent Loop BB39_14 Depth=2
                                        ; =>    This Inner Loop Header: Depth=3
	v_subrev_nc_u32_e32 v5, s19, v5
	v_add_nc_u32_e32 v15, 1, v15
	s_delay_alu instid0(VALU_DEP_2) | instskip(SKIP_1) | instid1(SALU_CYCLE_1)
	v_cmp_gt_i32_e64 s0, s19, v5
	s_or_b32 s2, s0, s2
	s_and_not1_b32 exec_lo, exec_lo, s2
	s_cbranch_execnz .LBB39_20
; %bb.21:                               ;   in Loop: Header=BB39_14 Depth=2
	s_or_b32 exec_lo, exec_lo, s2
	s_branch .LBB39_13
.LBB39_22:
	s_or_b32 exec_lo, exec_lo, s39
	v_cvt_f16_f32_e32 v2, v13
.LBB39_23:
	s_or_b32 exec_lo, exec_lo, s38
	s_load_b64 s[0:1], s[28:29], 0x0
	v_lshl_add_u32 v1, v0, 1, 0
	s_bcnt1_i32_b32 s2, s36
	s_delay_alu instid0(SALU_CYCLE_1)
	s_cmp_lg_u32 s2, 1
	s_mov_b32 s2, -1
	ds_store_b16 v1, v2
	s_wait_dscnt 0x0
	s_barrier_signal -1
	s_barrier_wait -1
	s_cbranch_scc1 .LBB39_32
; %bb.24:
	s_and_not1_b32 vcc_lo, exec_lo, s2
	s_cbranch_vccnz .LBB39_28
.LBB39_25:
	s_cmp_lt_u32 s36, 2
	s_cbranch_scc0 .LBB39_30
.LBB39_26:
	s_mov_b32 s2, exec_lo
	v_cmpx_eq_u32_e32 0, v0
	s_cbranch_execz .LBB39_28
; %bb.27:
	s_mul_i32 s2, s7, s27
	s_mul_i32 s4, s8, s33
	s_ashr_i32 s3, s2, 31
	s_ashr_i32 s5, s4, 31
	s_lshl_b64 s[2:3], s[2:3], 1
	s_wait_kmcnt 0x0
	s_add_nc_u64 s[0:1], s[0:1], s[2:3]
	s_lshl_b64 s[2:3], s[4:5], 1
	s_mul_i32 s4, s10, s12
	s_delay_alu instid0(SALU_CYCLE_1) | instskip(SKIP_4) | instid1(SALU_CYCLE_1)
	v_dual_mov_b32 v0, 0 :: v_dual_mov_b32 v1, s4
	s_add_nc_u64 s[0:1], s[0:1], s[2:3]
	s_mul_i32 s2, s9, s16
	ds_load_u16 v0, v0
	s_ashr_i32 s3, s2, 31
	s_lshl_b64 s[2:3], s[2:3], 1
	s_delay_alu instid0(SALU_CYCLE_1)
	s_add_nc_u64 s[0:1], s[0:1], s[2:3]
	s_wait_dscnt 0x0
	global_store_b16 v1, v0, s[0:1] scale_offset
.LBB39_28:
	s_endpgm
.LBB39_29:                              ;   in Loop: Header=BB39_30 Depth=1
	s_or_b32 exec_lo, exec_lo, s3
	s_cmp_lt_u32 s36, 4
	s_mov_b32 s36, s2
	s_wait_dscnt 0x0
	s_barrier_signal -1
	s_barrier_wait -1
	s_cbranch_scc1 .LBB39_26
.LBB39_30:                              ; =>This Inner Loop Header: Depth=1
	s_lshr_b32 s2, s36, 1
	s_mov_b32 s3, exec_lo
	v_cmpx_gt_u32_e64 s2, v0
	s_cbranch_execz .LBB39_29
; %bb.31:                               ;   in Loop: Header=BB39_30 Depth=1
	v_lshl_add_u32 v2, s2, 1, v1
	ds_load_u16 v2, v2
	ds_load_u16 v3, v1
	s_wait_dscnt 0x0
	v_add_f16_e32 v2, v2, v3
	ds_store_b16 v1, v2
	s_branch .LBB39_29
.LBB39_32:
	s_trap 2
	; divergent unreachable
	s_cbranch_execz .LBB39_25
	s_branch .LBB39_28
	.section	.rodata,"a",@progbits
	.p2align	6, 0x0
	.amdhsa_kernel _ZN2at6native12_GLOBAL__N_144conv_depthwise3d_cuda_backward_weight_kernelIN3c104HalfEfLi2ELi2EEEvN5torch10headeronly6detail27GenericPackedTensorAccessorINS7_14TensorAccessorINS3_8ArrayRefIlEEKT_Lm4ENS6_16DefaultPtrTraitsEiEENS_6detail16IndexBoundsCheckILm5EiEESD_Lm5ESE_iEESJ_NS8_INS9_ISB_SC_Lm4ESE_iEESI_SC_Lm5ESE_iEEiiiiiiiii
		.amdhsa_group_segment_fixed_size 0
		.amdhsa_private_segment_fixed_size 0
		.amdhsa_kernarg_size 440
		.amdhsa_user_sgpr_count 2
		.amdhsa_user_sgpr_dispatch_ptr 0
		.amdhsa_user_sgpr_queue_ptr 0
		.amdhsa_user_sgpr_kernarg_segment_ptr 1
		.amdhsa_user_sgpr_dispatch_id 0
		.amdhsa_user_sgpr_kernarg_preload_length 0
		.amdhsa_user_sgpr_kernarg_preload_offset 0
		.amdhsa_user_sgpr_private_segment_size 0
		.amdhsa_wavefront_size32 1
		.amdhsa_uses_dynamic_stack 0
		.amdhsa_enable_private_segment 0
		.amdhsa_system_sgpr_workgroup_id_x 1
		.amdhsa_system_sgpr_workgroup_id_y 0
		.amdhsa_system_sgpr_workgroup_id_z 0
		.amdhsa_system_sgpr_workgroup_info 0
		.amdhsa_system_vgpr_workitem_id 0
		.amdhsa_next_free_vgpr 20
		.amdhsa_next_free_sgpr 46
		.amdhsa_named_barrier_count 0
		.amdhsa_reserve_vcc 1
		.amdhsa_float_round_mode_32 0
		.amdhsa_float_round_mode_16_64 0
		.amdhsa_float_denorm_mode_32 3
		.amdhsa_float_denorm_mode_16_64 3
		.amdhsa_fp16_overflow 0
		.amdhsa_memory_ordered 1
		.amdhsa_forward_progress 1
		.amdhsa_inst_pref_size 17
		.amdhsa_round_robin_scheduling 0
		.amdhsa_exception_fp_ieee_invalid_op 0
		.amdhsa_exception_fp_denorm_src 0
		.amdhsa_exception_fp_ieee_div_zero 0
		.amdhsa_exception_fp_ieee_overflow 0
		.amdhsa_exception_fp_ieee_underflow 0
		.amdhsa_exception_fp_ieee_inexact 0
		.amdhsa_exception_int_div_zero 0
	.end_amdhsa_kernel
	.section	.text._ZN2at6native12_GLOBAL__N_144conv_depthwise3d_cuda_backward_weight_kernelIN3c104HalfEfLi2ELi2EEEvN5torch10headeronly6detail27GenericPackedTensorAccessorINS7_14TensorAccessorINS3_8ArrayRefIlEEKT_Lm4ENS6_16DefaultPtrTraitsEiEENS_6detail16IndexBoundsCheckILm5EiEESD_Lm5ESE_iEESJ_NS8_INS9_ISB_SC_Lm4ESE_iEESI_SC_Lm5ESE_iEEiiiiiiiii,"axG",@progbits,_ZN2at6native12_GLOBAL__N_144conv_depthwise3d_cuda_backward_weight_kernelIN3c104HalfEfLi2ELi2EEEvN5torch10headeronly6detail27GenericPackedTensorAccessorINS7_14TensorAccessorINS3_8ArrayRefIlEEKT_Lm4ENS6_16DefaultPtrTraitsEiEENS_6detail16IndexBoundsCheckILm5EiEESD_Lm5ESE_iEESJ_NS8_INS9_ISB_SC_Lm4ESE_iEESI_SC_Lm5ESE_iEEiiiiiiiii,comdat
.Lfunc_end39:
	.size	_ZN2at6native12_GLOBAL__N_144conv_depthwise3d_cuda_backward_weight_kernelIN3c104HalfEfLi2ELi2EEEvN5torch10headeronly6detail27GenericPackedTensorAccessorINS7_14TensorAccessorINS3_8ArrayRefIlEEKT_Lm4ENS6_16DefaultPtrTraitsEiEENS_6detail16IndexBoundsCheckILm5EiEESD_Lm5ESE_iEESJ_NS8_INS9_ISB_SC_Lm4ESE_iEESI_SC_Lm5ESE_iEEiiiiiiiii, .Lfunc_end39-_ZN2at6native12_GLOBAL__N_144conv_depthwise3d_cuda_backward_weight_kernelIN3c104HalfEfLi2ELi2EEEvN5torch10headeronly6detail27GenericPackedTensorAccessorINS7_14TensorAccessorINS3_8ArrayRefIlEEKT_Lm4ENS6_16DefaultPtrTraitsEiEENS_6detail16IndexBoundsCheckILm5EiEESD_Lm5ESE_iEESJ_NS8_INS9_ISB_SC_Lm4ESE_iEESI_SC_Lm5ESE_iEEiiiiiiiii
                                        ; -- End function
	.set _ZN2at6native12_GLOBAL__N_144conv_depthwise3d_cuda_backward_weight_kernelIN3c104HalfEfLi2ELi2EEEvN5torch10headeronly6detail27GenericPackedTensorAccessorINS7_14TensorAccessorINS3_8ArrayRefIlEEKT_Lm4ENS6_16DefaultPtrTraitsEiEENS_6detail16IndexBoundsCheckILm5EiEESD_Lm5ESE_iEESJ_NS8_INS9_ISB_SC_Lm4ESE_iEESI_SC_Lm5ESE_iEEiiiiiiiii.num_vgpr, 20
	.set _ZN2at6native12_GLOBAL__N_144conv_depthwise3d_cuda_backward_weight_kernelIN3c104HalfEfLi2ELi2EEEvN5torch10headeronly6detail27GenericPackedTensorAccessorINS7_14TensorAccessorINS3_8ArrayRefIlEEKT_Lm4ENS6_16DefaultPtrTraitsEiEENS_6detail16IndexBoundsCheckILm5EiEESD_Lm5ESE_iEESJ_NS8_INS9_ISB_SC_Lm4ESE_iEESI_SC_Lm5ESE_iEEiiiiiiiii.num_agpr, 0
	.set _ZN2at6native12_GLOBAL__N_144conv_depthwise3d_cuda_backward_weight_kernelIN3c104HalfEfLi2ELi2EEEvN5torch10headeronly6detail27GenericPackedTensorAccessorINS7_14TensorAccessorINS3_8ArrayRefIlEEKT_Lm4ENS6_16DefaultPtrTraitsEiEENS_6detail16IndexBoundsCheckILm5EiEESD_Lm5ESE_iEESJ_NS8_INS9_ISB_SC_Lm4ESE_iEESI_SC_Lm5ESE_iEEiiiiiiiii.numbered_sgpr, 46
	.set _ZN2at6native12_GLOBAL__N_144conv_depthwise3d_cuda_backward_weight_kernelIN3c104HalfEfLi2ELi2EEEvN5torch10headeronly6detail27GenericPackedTensorAccessorINS7_14TensorAccessorINS3_8ArrayRefIlEEKT_Lm4ENS6_16DefaultPtrTraitsEiEENS_6detail16IndexBoundsCheckILm5EiEESD_Lm5ESE_iEESJ_NS8_INS9_ISB_SC_Lm4ESE_iEESI_SC_Lm5ESE_iEEiiiiiiiii.num_named_barrier, 0
	.set _ZN2at6native12_GLOBAL__N_144conv_depthwise3d_cuda_backward_weight_kernelIN3c104HalfEfLi2ELi2EEEvN5torch10headeronly6detail27GenericPackedTensorAccessorINS7_14TensorAccessorINS3_8ArrayRefIlEEKT_Lm4ENS6_16DefaultPtrTraitsEiEENS_6detail16IndexBoundsCheckILm5EiEESD_Lm5ESE_iEESJ_NS8_INS9_ISB_SC_Lm4ESE_iEESI_SC_Lm5ESE_iEEiiiiiiiii.private_seg_size, 0
	.set _ZN2at6native12_GLOBAL__N_144conv_depthwise3d_cuda_backward_weight_kernelIN3c104HalfEfLi2ELi2EEEvN5torch10headeronly6detail27GenericPackedTensorAccessorINS7_14TensorAccessorINS3_8ArrayRefIlEEKT_Lm4ENS6_16DefaultPtrTraitsEiEENS_6detail16IndexBoundsCheckILm5EiEESD_Lm5ESE_iEESJ_NS8_INS9_ISB_SC_Lm4ESE_iEESI_SC_Lm5ESE_iEEiiiiiiiii.uses_vcc, 1
	.set _ZN2at6native12_GLOBAL__N_144conv_depthwise3d_cuda_backward_weight_kernelIN3c104HalfEfLi2ELi2EEEvN5torch10headeronly6detail27GenericPackedTensorAccessorINS7_14TensorAccessorINS3_8ArrayRefIlEEKT_Lm4ENS6_16DefaultPtrTraitsEiEENS_6detail16IndexBoundsCheckILm5EiEESD_Lm5ESE_iEESJ_NS8_INS9_ISB_SC_Lm4ESE_iEESI_SC_Lm5ESE_iEEiiiiiiiii.uses_flat_scratch, 0
	.set _ZN2at6native12_GLOBAL__N_144conv_depthwise3d_cuda_backward_weight_kernelIN3c104HalfEfLi2ELi2EEEvN5torch10headeronly6detail27GenericPackedTensorAccessorINS7_14TensorAccessorINS3_8ArrayRefIlEEKT_Lm4ENS6_16DefaultPtrTraitsEiEENS_6detail16IndexBoundsCheckILm5EiEESD_Lm5ESE_iEESJ_NS8_INS9_ISB_SC_Lm4ESE_iEESI_SC_Lm5ESE_iEEiiiiiiiii.has_dyn_sized_stack, 0
	.set _ZN2at6native12_GLOBAL__N_144conv_depthwise3d_cuda_backward_weight_kernelIN3c104HalfEfLi2ELi2EEEvN5torch10headeronly6detail27GenericPackedTensorAccessorINS7_14TensorAccessorINS3_8ArrayRefIlEEKT_Lm4ENS6_16DefaultPtrTraitsEiEENS_6detail16IndexBoundsCheckILm5EiEESD_Lm5ESE_iEESJ_NS8_INS9_ISB_SC_Lm4ESE_iEESI_SC_Lm5ESE_iEEiiiiiiiii.has_recursion, 0
	.set _ZN2at6native12_GLOBAL__N_144conv_depthwise3d_cuda_backward_weight_kernelIN3c104HalfEfLi2ELi2EEEvN5torch10headeronly6detail27GenericPackedTensorAccessorINS7_14TensorAccessorINS3_8ArrayRefIlEEKT_Lm4ENS6_16DefaultPtrTraitsEiEENS_6detail16IndexBoundsCheckILm5EiEESD_Lm5ESE_iEESJ_NS8_INS9_ISB_SC_Lm4ESE_iEESI_SC_Lm5ESE_iEEiiiiiiiii.has_indirect_call, 0
	.section	.AMDGPU.csdata,"",@progbits
; Kernel info:
; codeLenInByte = 2104
; TotalNumSgprs: 48
; NumVgprs: 20
; ScratchSize: 0
; MemoryBound: 0
; FloatMode: 240
; IeeeMode: 1
; LDSByteSize: 0 bytes/workgroup (compile time only)
; SGPRBlocks: 0
; VGPRBlocks: 1
; NumSGPRsForWavesPerEU: 48
; NumVGPRsForWavesPerEU: 20
; NamedBarCnt: 0
; Occupancy: 16
; WaveLimiterHint : 1
; COMPUTE_PGM_RSRC2:SCRATCH_EN: 0
; COMPUTE_PGM_RSRC2:USER_SGPR: 2
; COMPUTE_PGM_RSRC2:TRAP_HANDLER: 0
; COMPUTE_PGM_RSRC2:TGID_X_EN: 1
; COMPUTE_PGM_RSRC2:TGID_Y_EN: 0
; COMPUTE_PGM_RSRC2:TGID_Z_EN: 0
; COMPUTE_PGM_RSRC2:TIDIG_COMP_CNT: 0
	.section	.text._ZN2at6native12_GLOBAL__N_144conv_depthwise3d_cuda_backward_weight_kernelIN3c104HalfEfLin1ELin1EEEvN5torch10headeronly6detail27GenericPackedTensorAccessorINS7_14TensorAccessorINS3_8ArrayRefIlEEKT_Lm4ENS6_16DefaultPtrTraitsEiEENS_6detail16IndexBoundsCheckILm5EiEESD_Lm5ESE_iEESJ_NS8_INS9_ISB_SC_Lm4ESE_iEESI_SC_Lm5ESE_iEEiiiiiiiii,"axG",@progbits,_ZN2at6native12_GLOBAL__N_144conv_depthwise3d_cuda_backward_weight_kernelIN3c104HalfEfLin1ELin1EEEvN5torch10headeronly6detail27GenericPackedTensorAccessorINS7_14TensorAccessorINS3_8ArrayRefIlEEKT_Lm4ENS6_16DefaultPtrTraitsEiEENS_6detail16IndexBoundsCheckILm5EiEESD_Lm5ESE_iEESJ_NS8_INS9_ISB_SC_Lm4ESE_iEESI_SC_Lm5ESE_iEEiiiiiiiii,comdat
	.globl	_ZN2at6native12_GLOBAL__N_144conv_depthwise3d_cuda_backward_weight_kernelIN3c104HalfEfLin1ELin1EEEvN5torch10headeronly6detail27GenericPackedTensorAccessorINS7_14TensorAccessorINS3_8ArrayRefIlEEKT_Lm4ENS6_16DefaultPtrTraitsEiEENS_6detail16IndexBoundsCheckILm5EiEESD_Lm5ESE_iEESJ_NS8_INS9_ISB_SC_Lm4ESE_iEESI_SC_Lm5ESE_iEEiiiiiiiii ; -- Begin function _ZN2at6native12_GLOBAL__N_144conv_depthwise3d_cuda_backward_weight_kernelIN3c104HalfEfLin1ELin1EEEvN5torch10headeronly6detail27GenericPackedTensorAccessorINS7_14TensorAccessorINS3_8ArrayRefIlEEKT_Lm4ENS6_16DefaultPtrTraitsEiEENS_6detail16IndexBoundsCheckILm5EiEESD_Lm5ESE_iEESJ_NS8_INS9_ISB_SC_Lm4ESE_iEESI_SC_Lm5ESE_iEEiiiiiiiii
	.p2align	8
	.type	_ZN2at6native12_GLOBAL__N_144conv_depthwise3d_cuda_backward_weight_kernelIN3c104HalfEfLin1ELin1EEEvN5torch10headeronly6detail27GenericPackedTensorAccessorINS7_14TensorAccessorINS3_8ArrayRefIlEEKT_Lm4ENS6_16DefaultPtrTraitsEiEENS_6detail16IndexBoundsCheckILm5EiEESD_Lm5ESE_iEESJ_NS8_INS9_ISB_SC_Lm4ESE_iEESI_SC_Lm5ESE_iEEiiiiiiiii,@function
_ZN2at6native12_GLOBAL__N_144conv_depthwise3d_cuda_backward_weight_kernelIN3c104HalfEfLin1ELin1EEEvN5torch10headeronly6detail27GenericPackedTensorAccessorINS7_14TensorAccessorINS3_8ArrayRefIlEEKT_Lm4ENS6_16DefaultPtrTraitsEiEENS_6detail16IndexBoundsCheckILm5EiEESD_Lm5ESE_iEESJ_NS8_INS9_ISB_SC_Lm4ESE_iEESI_SC_Lm5ESE_iEEiiiiiiiii: ; @_ZN2at6native12_GLOBAL__N_144conv_depthwise3d_cuda_backward_weight_kernelIN3c104HalfEfLin1ELin1EEEvN5torch10headeronly6detail27GenericPackedTensorAccessorINS7_14TensorAccessorINS3_8ArrayRefIlEEKT_Lm4ENS6_16DefaultPtrTraitsEiEENS_6detail16IndexBoundsCheckILm5EiEESD_Lm5ESE_iEESJ_NS8_INS9_ISB_SC_Lm4ESE_iEESI_SC_Lm5ESE_iEEiiiiiiiii
; %bb.0:
	s_load_b128 s[12:15], s[0:1], 0x70
	s_and_b32 s4, ttmp6, 15
	s_getreg_b32 s5, hwreg(HW_REG_IB_STS2, 6, 4)
	s_clause 0x1
	s_load_b128 s[16:19], s[0:1], 0x3c
	s_load_b128 s[20:23], s[0:1], 0xc
	s_wait_kmcnt 0x0
	s_cvt_f32_u32 s2, s14
	s_delay_alu instid0(SALU_CYCLE_3) | instskip(SKIP_1) | instid1(SALU_CYCLE_1)
	v_rcp_iflag_f32_e32 v1, s2
	s_bfe_u32 s2, ttmp6, 0x4000c
	s_add_co_i32 s2, s2, 1
	s_delay_alu instid0(SALU_CYCLE_1) | instskip(NEXT) | instid1(SALU_CYCLE_1)
	s_mul_i32 s2, ttmp9, s2
	s_add_co_i32 s4, s4, s2
	v_nop
	s_delay_alu instid0(TRANS32_DEP_1)
	v_readfirstlane_b32 s3, v1
	s_cmp_eq_u32 s5, 0
	s_cselect_b32 s2, ttmp9, s4
	s_cvt_f32_u32 s4, s13
	s_mul_f32 s3, s3, 0x4f7ffffe
	s_sub_co_i32 s5, 0, s14
	s_delay_alu instid0(SALU_CYCLE_1) | instskip(NEXT) | instid1(SALU_CYCLE_1)
	v_rcp_iflag_f32_e32 v1, s4
	s_cvt_u32_f32 s3, s3
	s_delay_alu instid0(SALU_CYCLE_3) | instskip(NEXT) | instid1(SALU_CYCLE_1)
	s_mul_i32 s5, s5, s3
	s_mul_hi_u32 s4, s3, s5
	v_nop
	s_delay_alu instid0(TRANS32_DEP_1) | instskip(SKIP_3) | instid1(SALU_CYCLE_1)
	v_readfirstlane_b32 s6, v1
	s_add_co_i32 s3, s3, s4
	s_cvt_f32_u32 s4, s12
	s_mul_hi_u32 s3, s2, s3
	s_mul_i32 s5, s3, s14
	s_add_co_i32 s7, s3, 1
	s_sub_co_i32 s5, s2, s5
	s_mul_f32 s6, s6, 0x4f7ffffe
	s_sub_co_i32 s8, s5, s14
	s_cmp_ge_u32 s5, s14
	v_rcp_iflag_f32_e32 v1, s4
	s_cselect_b32 s3, s7, s3
	s_cselect_b32 s5, s8, s5
	s_add_co_i32 s7, s3, 1
	s_cmp_ge_u32 s5, s14
	s_cvt_u32_f32 s5, s6
	s_cselect_b32 s28, s7, s3
	s_sub_co_i32 s3, 0, s13
	s_delay_alu instid0(SALU_CYCLE_1) | instskip(NEXT) | instid1(SALU_CYCLE_1)
	s_mul_i32 s3, s3, s5
	s_mul_hi_u32 s3, s5, s3
	s_delay_alu instid0(SALU_CYCLE_1) | instskip(NEXT) | instid1(SALU_CYCLE_1)
	s_add_co_i32 s5, s5, s3
	s_mul_hi_u32 s3, s28, s5
	v_nop
	v_readfirstlane_b32 s5, v1
	s_mul_i32 s4, s3, s13
	s_add_co_i32 s6, s3, 1
	s_sub_co_i32 s4, s28, s4
	s_delay_alu instid0(SALU_CYCLE_1)
	s_sub_co_i32 s7, s4, s13
	s_cmp_ge_u32 s4, s13
	s_mul_f32 s5, s5, 0x4f7ffffe
	s_cselect_b32 s3, s6, s3
	s_cselect_b32 s4, s7, s4
	s_add_co_i32 s6, s3, 1
	s_cmp_ge_u32 s4, s13
	s_cvt_u32_f32 s4, s5
	s_cselect_b32 s29, s6, s3
	s_sub_co_i32 s3, 0, s12
	s_delay_alu instid0(SALU_CYCLE_1) | instskip(NEXT) | instid1(SALU_CYCLE_1)
	s_mul_i32 s3, s3, s4
	s_mul_hi_u32 s3, s4, s3
	s_delay_alu instid0(SALU_CYCLE_1) | instskip(NEXT) | instid1(SALU_CYCLE_1)
	s_add_co_i32 s4, s4, s3
	s_mul_hi_u32 s3, s29, s4
	s_delay_alu instid0(SALU_CYCLE_1) | instskip(SKIP_2) | instid1(SALU_CYCLE_1)
	s_mul_i32 s4, s3, s12
	s_add_co_i32 s5, s3, 1
	s_sub_co_i32 s4, s29, s4
	s_sub_co_i32 s6, s4, s12
	s_cmp_ge_u32 s4, s12
	s_cselect_b32 s3, s5, s3
	s_cselect_b32 s4, s6, s4
	s_add_co_i32 s5, s3, 1
	s_cmp_ge_u32 s4, s12
	s_cselect_b32 s31, s5, s3
	s_abs_i32 s3, s16
	s_abs_i32 s6, s20
	s_cvt_f32_u32 s4, s3
	s_sub_co_i32 s5, 0, s3
	s_delay_alu instid0(SALU_CYCLE_2) | instskip(SKIP_1) | instid1(TRANS32_DEP_1)
	v_rcp_iflag_f32_e32 v1, s4
	v_nop
	v_readfirstlane_b32 s4, v1
	s_mul_f32 s4, s4, 0x4f7ffffe
	s_delay_alu instid0(SALU_CYCLE_3) | instskip(NEXT) | instid1(SALU_CYCLE_3)
	s_cvt_u32_f32 s4, s4
	s_mul_i32 s5, s5, s4
	s_delay_alu instid0(SALU_CYCLE_1) | instskip(NEXT) | instid1(SALU_CYCLE_1)
	s_mul_hi_u32 s5, s4, s5
	s_add_co_i32 s4, s4, s5
	s_xor_b32 s5, s20, s16
	s_mul_hi_u32 s4, s6, s4
	s_ashr_i32 s5, s5, 31
	s_mul_i32 s7, s4, s3
	s_delay_alu instid0(SALU_CYCLE_1)
	s_sub_co_i32 s6, s6, s7
	s_add_co_i32 s7, s4, 1
	s_sub_co_i32 s8, s6, s3
	s_cmp_ge_u32 s6, s3
	s_cselect_b32 s4, s7, s4
	s_cselect_b32 s6, s8, s6
	s_add_co_i32 s7, s4, 1
	s_cmp_ge_u32 s6, s3
	s_cselect_b32 s3, s7, s4
	s_load_b32 s4, s[0:1], 0x68
	s_xor_b32 s3, s3, s5
	s_delay_alu instid0(SALU_CYCLE_1) | instskip(NEXT) | instid1(SALU_CYCLE_1)
	s_sub_co_i32 s36, s3, s5
	s_abs_i32 s30, s36
	s_delay_alu instid0(SALU_CYCLE_1) | instskip(NEXT) | instid1(SALU_CYCLE_3)
	s_cvt_f32_u32 s3, s30
	v_rcp_iflag_f32_e32 v1, s3
	s_mov_b32 s3, 0
	v_nop
	s_delay_alu instid0(TRANS32_DEP_1)
	v_readfirstlane_b32 s37, v1
	s_wait_kmcnt 0x0
	s_cmp_ge_i32 s31, s4
	s_cbranch_scc1 .LBB40_28
; %bb.1:
	s_load_b32 s41, s[0:1], 0x38
	s_add_nc_u64 s[34:35], s[0:1], 0x60
	s_load_b32 s38, s[0:1], 0xc4
	s_clause 0x1
	s_load_b128 s[24:27], s[34:35], 0x44
	s_load_b256 s[4:11], s[34:35], 0x24
	v_dual_mov_b32 v2, 0 :: v_dual_lshrrev_b32 v1, 5, v0
	s_mul_i32 s14, s28, s14
	s_mul_i32 s13, s29, s13
	;; [unrolled: 1-line block ×3, first 2 shown]
	s_sub_co_i32 s16, s2, s14
	s_sub_co_i32 s20, s28, s13
	;; [unrolled: 1-line block ×3, first 2 shown]
	s_mov_b32 s42, exec_lo
	s_wait_kmcnt 0x0
	s_and_b32 s40, s38, 0xffff
	s_mul_i32 s41, s41, s21
	s_delay_alu instid0(SALU_CYCLE_1)
	v_cmpx_gt_i32_e64 s41, v1
	s_cbranch_execz .LBB40_23
; %bb.2:
	s_mul_f32 s2, s37, 0x4f7ffffe
	s_ashr_i32 s14, s31, 31
	s_mov_b32 s43, 0
	v_mov_b32_e32 v13, 0
	s_cvt_u32_f32 s12, s2
	s_sub_co_i32 s2, 0, s30
	s_delay_alu instid0(SALU_CYCLE_2)
	s_mul_i32 s13, s2, s12
	s_abs_i32 s2, s31
	s_mul_hi_u32 s28, s12, s13
	s_mov_b32 s13, s3
	s_add_co_i32 s12, s12, s28
	s_ashr_i32 s28, s36, 31
	s_mul_u64 s[12:13], s[2:3], s[12:13]
	s_lshr_b32 s3, s40, 5
	s_mul_i32 s12, s13, s30
	s_xor_b32 s44, s14, s28
	s_sub_co_i32 s2, s2, s12
	s_add_co_i32 s12, s13, 1
	s_sub_co_i32 s14, s2, s30
	s_cmp_ge_u32 s2, s30
	s_cselect_b32 s12, s12, s13
	s_cselect_b32 s2, s14, s2
	s_add_co_i32 s13, s12, 1
	s_cmp_ge_u32 s2, s30
	s_cselect_b32 s45, s13, s12
	s_abs_i32 s46, s21
	s_abs_i32 s47, s23
	s_cvt_f32_u32 s2, s46
	s_cvt_f32_u32 s12, s47
	s_sub_co_i32 s13, 0, s46
	s_sub_co_i32 s14, 0, s47
	v_rcp_iflag_f32_e32 v2, s2
	v_rcp_iflag_f32_e32 v3, s12
	s_delay_alu instid0(TRANS32_DEP_2) | instskip(NEXT) | instid1(TRANS32_DEP_1)
	v_readfirstlane_b32 s2, v2
	v_readfirstlane_b32 s12, v3
	s_mul_f32 s2, s2, 0x4f7ffffe
	s_mul_f32 s12, s12, 0x4f7ffffe
	s_delay_alu instid0(SALU_CYCLE_2) | instskip(NEXT) | instid1(SALU_CYCLE_2)
	s_cvt_u32_f32 s2, s2
	s_cvt_u32_f32 s12, s12
	s_delay_alu instid0(SALU_CYCLE_2) | instskip(NEXT) | instid1(SALU_CYCLE_2)
	s_mul_i32 s13, s13, s2
	s_mul_i32 s14, s14, s12
	s_mul_hi_u32 s13, s2, s13
	s_delay_alu instid0(SALU_CYCLE_1) | instskip(SKIP_3) | instid1(VALU_DEP_1)
	s_add_co_i32 s2, s2, s13
	s_mul_hi_u32 s13, s12, s14
	v_mul_hi_u32 v3, v1, s2
	s_add_co_i32 s12, s12, s13
	v_mul_lo_u32 v5, v3, s46
	s_delay_alu instid0(VALU_DEP_1) | instskip(NEXT) | instid1(VALU_DEP_1)
	v_dual_sub_nc_u32 v5, v1, v5 :: v_dual_bitop2_b32 v2, 31, v0 bitop3:0x40
	v_mul_hi_u32 v4, v2, s12
	s_clause 0x3
	s_load_b64 s[36:37], s[0:1], 0x0
	s_load_b96 s[12:14], s[0:1], 0x1c
	s_load_b64 s[38:39], s[0:1], 0x30
	s_load_b96 s[28:30], s[0:1], 0x4c
	s_wait_xcnt 0x0
	s_ashr_i32 s0, s21, 31
	v_cmp_le_u32_e32 vcc_lo, s46, v5
	s_mul_i32 s1, s33, s25
	s_mul_i32 s25, s16, s27
	s_sub_co_i32 s10, s1, s10
	v_mul_lo_u32 v6, v4, s47
	s_delay_alu instid0(VALU_DEP_1) | instskip(NEXT) | instid1(VALU_DEP_1)
	v_dual_add_nc_u32 v7, 1, v3 :: v_dual_sub_nc_u32 v6, v2, v6
	v_dual_cndmask_b32 v3, v3, v7 :: v_dual_add_nc_u32 v8, 1, v4
	v_subrev_nc_u32_e32 v7, s46, v5
	s_delay_alu instid0(VALU_DEP_3) | instskip(NEXT) | instid1(VALU_DEP_1)
	v_cmp_le_u32_e64 s2, s47, v6
	v_dual_cndmask_b32 v5, v5, v7, vcc_lo :: v_dual_cndmask_b32 v4, v4, v8, s2
	v_subrev_nc_u32_e32 v8, s47, v6
	v_add_nc_u32_e32 v7, 1, v3
	s_delay_alu instid0(VALU_DEP_3) | instskip(NEXT) | instid1(VALU_DEP_3)
	v_cmp_le_u32_e32 vcc_lo, s46, v5
	v_cndmask_b32_e64 v6, v6, v8, s2
	s_delay_alu instid0(VALU_DEP_3) | instskip(SKIP_1) | instid1(VALU_DEP_2)
	v_dual_cndmask_b32 v3, v3, v7 :: v_dual_add_nc_u32 v8, 1, v4
	s_ashr_i32 s2, s23, 31
	v_cmp_le_u32_e32 vcc_lo, s47, v6
	s_delay_alu instid0(VALU_DEP_2) | instskip(NEXT) | instid1(VALU_DEP_3)
	v_dual_mov_b32 v3, 0 :: v_dual_bitop2_b32 v5, s0, v3 bitop3:0x14
	v_cndmask_b32_e32 v4, v4, v8, vcc_lo
	s_delay_alu instid0(VALU_DEP_2)
	v_subrev_nc_u32_e32 v10, s0, v5
	s_wait_kmcnt 0x0
	s_mul_i32 s0, s13, s31
	s_sub_co_i32 s13, s25, s24
	v_xor_b32_e32 v6, s2, v4
	s_ashr_i32 s1, s0, 31
	v_mul_lo_u32 v5, v10, s21
	s_lshl_b64 s[0:1], s[0:1], 1
	v_lshlrev_b32_e32 v4, 1, v2
	v_subrev_nc_u32_e32 v11, s2, v6
	s_xor_b32 s2, s45, s44
	s_add_nc_u64 s[36:37], s[36:37], s[0:1]
	s_sub_co_i32 s2, s2, s44
	s_mul_i32 s0, s20, s26
	v_mul_lo_u32 v6, v11, s23
	s_mul_i32 s44, s29, s2
	s_sub_co_i32 s11, s0, s11
	s_ashr_i32 s45, s44, 31
	v_sub_nc_u32_e32 v12, v1, v5
	s_lshl_b64 s[44:45], s[44:45], 1
	v_cmp_gt_i32_e32 vcc_lo, s22, v11
	s_add_nc_u64 s[38:39], s[38:39], s[44:45]
	s_delay_alu instid0(VALU_DEP_3)
	v_sub_nc_u32_e32 v14, v2, v6
	s_branch .LBB40_6
.LBB40_3:                               ;   in Loop: Header=BB40_6 Depth=1
	s_or_b32 exec_lo, exec_lo, s26
.LBB40_4:                               ;   in Loop: Header=BB40_6 Depth=1
	s_delay_alu instid0(SALU_CYCLE_1)
	s_or_b32 exec_lo, exec_lo, s25
.LBB40_5:                               ;   in Loop: Header=BB40_6 Depth=1
	s_delay_alu instid0(SALU_CYCLE_1) | instskip(SKIP_1) | instid1(VALU_DEP_1)
	s_or_b32 exec_lo, exec_lo, s24
	v_dual_add_nc_u32 v1, s3, v1 :: v_dual_add_nc_u32 v12, s3, v12
	v_cmp_le_i32_e64 s0, s41, v1
	s_or_b32 s43, s0, s43
	s_delay_alu instid0(SALU_CYCLE_1)
	s_and_not1_b32 exec_lo, exec_lo, s43
	s_cbranch_execz .LBB40_22
.LBB40_6:                               ; =>This Loop Header: Depth=1
                                        ;     Child Loop BB40_8 Depth 2
                                        ;     Child Loop BB40_14 Depth 2
                                        ;       Child Loop BB40_20 Depth 3
	s_mov_b32 s1, exec_lo
	v_cmpx_le_i32_e64 s21, v12
	s_cbranch_execz .LBB40_10
; %bb.7:                                ;   in Loop: Header=BB40_6 Depth=1
	s_mov_b32 s2, 0
.LBB40_8:                               ;   Parent Loop BB40_6 Depth=1
                                        ; =>  This Inner Loop Header: Depth=2
	v_subrev_nc_u32_e32 v12, s21, v12
	v_add_nc_u32_e32 v10, 1, v10
	s_delay_alu instid0(VALU_DEP_2) | instskip(SKIP_1) | instid1(SALU_CYCLE_1)
	v_cmp_gt_i32_e64 s0, s21, v12
	s_or_b32 s2, s0, s2
	s_and_not1_b32 exec_lo, exec_lo, s2
	s_cbranch_execnz .LBB40_8
; %bb.9:                                ;   in Loop: Header=BB40_6 Depth=1
	s_or_b32 exec_lo, exec_lo, s2
.LBB40_10:                              ;   in Loop: Header=BB40_6 Depth=1
	s_delay_alu instid0(SALU_CYCLE_1) | instskip(SKIP_1) | instid1(VALU_DEP_1)
	s_or_b32 exec_lo, exec_lo, s1
	v_mad_u32 v2, v12, s7, s10
	v_cmp_lt_i32_e64 s0, -1, v2
	v_cmp_gt_i32_e64 s1, s17, v2
	s_and_b32 s0, s0, s1
	s_delay_alu instid0(SALU_CYCLE_1)
	s_and_saveexec_b32 s24, s0
	s_cbranch_execz .LBB40_5
; %bb.11:                               ;   in Loop: Header=BB40_6 Depth=1
	s_and_saveexec_b32 s25, vcc_lo
	s_cbranch_execz .LBB40_4
; %bb.12:                               ;   in Loop: Header=BB40_6 Depth=1
	v_mul_lo_u32 v6, s12, v10
	v_mul_lo_u32 v8, s28, v10
	v_mul_lo_u32 v16, s14, v12
	v_mul_lo_u32 v18, s30, v2
	v_dual_mov_b32 v5, v3 :: v_dual_mov_b32 v15, v11
	s_mov_b32 s26, 0
	s_delay_alu instid0(VALU_DEP_4) | instskip(NEXT) | instid1(VALU_DEP_3)
	v_dual_ashrrev_i32 v7, 31, v6 :: v_dual_ashrrev_i32 v9, 31, v8
	v_dual_ashrrev_i32 v17, 31, v16 :: v_dual_ashrrev_i32 v19, 31, v18
	s_delay_alu instid0(VALU_DEP_2) | instskip(NEXT) | instid1(VALU_DEP_3)
	v_lshl_add_u64 v[6:7], v[6:7], 1, s[36:37]
	v_lshl_add_u64 v[8:9], v[8:9], 1, s[38:39]
	s_delay_alu instid0(VALU_DEP_2) | instskip(NEXT) | instid1(VALU_DEP_2)
	v_lshl_add_u64 v[16:17], v[16:17], 1, v[6:7]
	v_lshl_add_u64 v[6:7], v[18:19], 1, v[8:9]
	s_delay_alu instid0(VALU_DEP_2)
	v_add_nc_u64_e32 v[8:9], v[16:17], v[4:5]
	v_mov_b32_e32 v5, v14
	s_branch .LBB40_14
.LBB40_13:                              ;   in Loop: Header=BB40_14 Depth=2
	s_or_b32 exec_lo, exec_lo, s1
	v_cmp_le_i32_e64 s0, s22, v15
	v_add_nc_u64_e32 v[8:9], 64, v[8:9]
	s_wait_loadcnt 0x0
	v_fma_mix_f32 v13, v2, v16, v13 op_sel_hi:[0,1,0]
	s_or_b32 s26, s0, s26
	s_delay_alu instid0(SALU_CYCLE_1)
	s_and_not1_b32 exec_lo, exec_lo, s26
	s_cbranch_execz .LBB40_3
.LBB40_14:                              ;   Parent Loop BB40_6 Depth=1
                                        ; =>  This Loop Header: Depth=2
                                        ;       Child Loop BB40_20 Depth 3
	global_load_u16 v16, v[8:9], off
	v_mad_u32 v17, v5, s9, s13
	v_mov_b32_e32 v2, 0
	s_mov_b32 s27, exec_lo
	s_wait_xcnt 0x0
	s_delay_alu instid0(VALU_DEP_2)
	v_cmpx_lt_i32_e32 -1, v17
	s_cbranch_execz .LBB40_18
; %bb.15:                               ;   in Loop: Header=BB40_14 Depth=2
	v_mad_u32 v18, v15, s8, s11
	v_cmp_gt_i32_e64 s0, s19, v17
	v_mov_b32_e32 v2, 0
	s_delay_alu instid0(VALU_DEP_3) | instskip(SKIP_2) | instid1(SALU_CYCLE_1)
	v_cmp_gt_i32_e64 s1, s18, v18
	v_cmp_lt_i32_e64 s2, -1, v18
	s_and_b32 s0, s0, s1
	s_and_b32 s1, s0, s2
	s_delay_alu instid0(SALU_CYCLE_1)
	s_and_saveexec_b32 s0, s1
	s_cbranch_execz .LBB40_17
; %bb.16:                               ;   in Loop: Header=BB40_14 Depth=2
	v_mad_u32 v2, v18, s19, v17
	s_delay_alu instid0(VALU_DEP_1)
	v_lshl_add_u64 v[18:19], v[2:3], 1, v[6:7]
	global_load_u16 v2, v[18:19], off
	s_wait_loadcnt 0x0
	v_cvt_f32_f16_e32 v2, v2
.LBB40_17:                              ;   in Loop: Header=BB40_14 Depth=2
	s_or_b32 exec_lo, exec_lo, s0
.LBB40_18:                              ;   in Loop: Header=BB40_14 Depth=2
	s_delay_alu instid0(SALU_CYCLE_1) | instskip(SKIP_2) | instid1(VALU_DEP_1)
	s_or_b32 exec_lo, exec_lo, s27
	v_add_nc_u32_e32 v5, 32, v5
	s_mov_b32 s1, exec_lo
	v_cmpx_le_i32_e64 s23, v5
	s_cbranch_execz .LBB40_13
; %bb.19:                               ;   in Loop: Header=BB40_14 Depth=2
	s_mov_b32 s2, 0
.LBB40_20:                              ;   Parent Loop BB40_6 Depth=1
                                        ;     Parent Loop BB40_14 Depth=2
                                        ; =>    This Inner Loop Header: Depth=3
	v_subrev_nc_u32_e32 v5, s23, v5
	v_add_nc_u32_e32 v15, 1, v15
	s_delay_alu instid0(VALU_DEP_2) | instskip(SKIP_1) | instid1(SALU_CYCLE_1)
	v_cmp_gt_i32_e64 s0, s23, v5
	s_or_b32 s2, s0, s2
	s_and_not1_b32 exec_lo, exec_lo, s2
	s_cbranch_execnz .LBB40_20
; %bb.21:                               ;   in Loop: Header=BB40_14 Depth=2
	s_or_b32 exec_lo, exec_lo, s2
	s_branch .LBB40_13
.LBB40_22:
	s_or_b32 exec_lo, exec_lo, s43
	v_cvt_f16_f32_e32 v2, v13
.LBB40_23:
	s_or_b32 exec_lo, exec_lo, s42
	s_load_b64 s[0:1], s[34:35], 0x0
	v_lshl_add_u32 v1, v0, 1, 0
	s_bcnt1_i32_b32 s2, s40
	s_delay_alu instid0(SALU_CYCLE_1)
	s_cmp_lg_u32 s2, 1
	s_mov_b32 s2, -1
	ds_store_b16 v1, v2
	s_wait_dscnt 0x0
	s_barrier_signal -1
	s_barrier_wait -1
	s_cbranch_scc1 .LBB40_32
; %bb.24:
	s_and_not1_b32 vcc_lo, exec_lo, s2
	s_cbranch_vccnz .LBB40_28
.LBB40_25:
	s_cmp_lt_u32 s40, 2
	s_cbranch_scc0 .LBB40_30
.LBB40_26:
	s_mov_b32 s2, exec_lo
	v_cmpx_eq_u32_e32 0, v0
	s_cbranch_execz .LBB40_28
; %bb.27:
	s_mul_i32 s8, s4, s33
	s_mul_i32 s4, s6, s16
	s_delay_alu instid0(SALU_CYCLE_1)
	v_dual_mov_b32 v0, 0 :: v_dual_mov_b32 v1, s4
	s_mul_i32 s2, s15, s31
	s_ashr_i32 s9, s8, 31
	s_ashr_i32 s3, s2, 31
	ds_load_u16 v0, v0
	s_lshl_b64 s[2:3], s[2:3], 1
	s_wait_kmcnt 0x0
	s_add_nc_u64 s[0:1], s[0:1], s[2:3]
	s_lshl_b64 s[2:3], s[8:9], 1
	s_delay_alu instid0(SALU_CYCLE_1) | instskip(SKIP_1) | instid1(SALU_CYCLE_1)
	s_add_nc_u64 s[0:1], s[0:1], s[2:3]
	s_mul_i32 s2, s5, s20
	s_ashr_i32 s3, s2, 31
	s_delay_alu instid0(SALU_CYCLE_1) | instskip(NEXT) | instid1(SALU_CYCLE_1)
	s_lshl_b64 s[2:3], s[2:3], 1
	s_add_nc_u64 s[0:1], s[0:1], s[2:3]
	s_wait_dscnt 0x0
	global_store_b16 v1, v0, s[0:1] scale_offset
.LBB40_28:
	s_endpgm
.LBB40_29:                              ;   in Loop: Header=BB40_30 Depth=1
	s_or_b32 exec_lo, exec_lo, s3
	s_cmp_lt_u32 s40, 4
	s_mov_b32 s40, s2
	s_wait_dscnt 0x0
	s_barrier_signal -1
	s_barrier_wait -1
	s_cbranch_scc1 .LBB40_26
.LBB40_30:                              ; =>This Inner Loop Header: Depth=1
	s_lshr_b32 s2, s40, 1
	s_mov_b32 s3, exec_lo
	v_cmpx_gt_u32_e64 s2, v0
	s_cbranch_execz .LBB40_29
; %bb.31:                               ;   in Loop: Header=BB40_30 Depth=1
	v_lshl_add_u32 v2, s2, 1, v1
	ds_load_u16 v2, v2
	ds_load_u16 v3, v1
	s_wait_dscnt 0x0
	v_add_f16_e32 v2, v2, v3
	ds_store_b16 v1, v2
	s_branch .LBB40_29
.LBB40_32:
	s_trap 2
	; divergent unreachable
	s_cbranch_execz .LBB40_25
	s_branch .LBB40_28
	.section	.rodata,"a",@progbits
	.p2align	6, 0x0
	.amdhsa_kernel _ZN2at6native12_GLOBAL__N_144conv_depthwise3d_cuda_backward_weight_kernelIN3c104HalfEfLin1ELin1EEEvN5torch10headeronly6detail27GenericPackedTensorAccessorINS7_14TensorAccessorINS3_8ArrayRefIlEEKT_Lm4ENS6_16DefaultPtrTraitsEiEENS_6detail16IndexBoundsCheckILm5EiEESD_Lm5ESE_iEESJ_NS8_INS9_ISB_SC_Lm4ESE_iEESI_SC_Lm5ESE_iEEiiiiiiiii
		.amdhsa_group_segment_fixed_size 0
		.amdhsa_private_segment_fixed_size 0
		.amdhsa_kernarg_size 440
		.amdhsa_user_sgpr_count 2
		.amdhsa_user_sgpr_dispatch_ptr 0
		.amdhsa_user_sgpr_queue_ptr 0
		.amdhsa_user_sgpr_kernarg_segment_ptr 1
		.amdhsa_user_sgpr_dispatch_id 0
		.amdhsa_user_sgpr_kernarg_preload_length 0
		.amdhsa_user_sgpr_kernarg_preload_offset 0
		.amdhsa_user_sgpr_private_segment_size 0
		.amdhsa_wavefront_size32 1
		.amdhsa_uses_dynamic_stack 0
		.amdhsa_enable_private_segment 0
		.amdhsa_system_sgpr_workgroup_id_x 1
		.amdhsa_system_sgpr_workgroup_id_y 0
		.amdhsa_system_sgpr_workgroup_id_z 0
		.amdhsa_system_sgpr_workgroup_info 0
		.amdhsa_system_vgpr_workitem_id 0
		.amdhsa_next_free_vgpr 20
		.amdhsa_next_free_sgpr 48
		.amdhsa_named_barrier_count 0
		.amdhsa_reserve_vcc 1
		.amdhsa_float_round_mode_32 0
		.amdhsa_float_round_mode_16_64 0
		.amdhsa_float_denorm_mode_32 3
		.amdhsa_float_denorm_mode_16_64 3
		.amdhsa_fp16_overflow 0
		.amdhsa_memory_ordered 1
		.amdhsa_forward_progress 1
		.amdhsa_inst_pref_size 17
		.amdhsa_round_robin_scheduling 0
		.amdhsa_exception_fp_ieee_invalid_op 0
		.amdhsa_exception_fp_denorm_src 0
		.amdhsa_exception_fp_ieee_div_zero 0
		.amdhsa_exception_fp_ieee_overflow 0
		.amdhsa_exception_fp_ieee_underflow 0
		.amdhsa_exception_fp_ieee_inexact 0
		.amdhsa_exception_int_div_zero 0
	.end_amdhsa_kernel
	.section	.text._ZN2at6native12_GLOBAL__N_144conv_depthwise3d_cuda_backward_weight_kernelIN3c104HalfEfLin1ELin1EEEvN5torch10headeronly6detail27GenericPackedTensorAccessorINS7_14TensorAccessorINS3_8ArrayRefIlEEKT_Lm4ENS6_16DefaultPtrTraitsEiEENS_6detail16IndexBoundsCheckILm5EiEESD_Lm5ESE_iEESJ_NS8_INS9_ISB_SC_Lm4ESE_iEESI_SC_Lm5ESE_iEEiiiiiiiii,"axG",@progbits,_ZN2at6native12_GLOBAL__N_144conv_depthwise3d_cuda_backward_weight_kernelIN3c104HalfEfLin1ELin1EEEvN5torch10headeronly6detail27GenericPackedTensorAccessorINS7_14TensorAccessorINS3_8ArrayRefIlEEKT_Lm4ENS6_16DefaultPtrTraitsEiEENS_6detail16IndexBoundsCheckILm5EiEESD_Lm5ESE_iEESJ_NS8_INS9_ISB_SC_Lm4ESE_iEESI_SC_Lm5ESE_iEEiiiiiiiii,comdat
.Lfunc_end40:
	.size	_ZN2at6native12_GLOBAL__N_144conv_depthwise3d_cuda_backward_weight_kernelIN3c104HalfEfLin1ELin1EEEvN5torch10headeronly6detail27GenericPackedTensorAccessorINS7_14TensorAccessorINS3_8ArrayRefIlEEKT_Lm4ENS6_16DefaultPtrTraitsEiEENS_6detail16IndexBoundsCheckILm5EiEESD_Lm5ESE_iEESJ_NS8_INS9_ISB_SC_Lm4ESE_iEESI_SC_Lm5ESE_iEEiiiiiiiii, .Lfunc_end40-_ZN2at6native12_GLOBAL__N_144conv_depthwise3d_cuda_backward_weight_kernelIN3c104HalfEfLin1ELin1EEEvN5torch10headeronly6detail27GenericPackedTensorAccessorINS7_14TensorAccessorINS3_8ArrayRefIlEEKT_Lm4ENS6_16DefaultPtrTraitsEiEENS_6detail16IndexBoundsCheckILm5EiEESD_Lm5ESE_iEESJ_NS8_INS9_ISB_SC_Lm4ESE_iEESI_SC_Lm5ESE_iEEiiiiiiiii
                                        ; -- End function
	.set _ZN2at6native12_GLOBAL__N_144conv_depthwise3d_cuda_backward_weight_kernelIN3c104HalfEfLin1ELin1EEEvN5torch10headeronly6detail27GenericPackedTensorAccessorINS7_14TensorAccessorINS3_8ArrayRefIlEEKT_Lm4ENS6_16DefaultPtrTraitsEiEENS_6detail16IndexBoundsCheckILm5EiEESD_Lm5ESE_iEESJ_NS8_INS9_ISB_SC_Lm4ESE_iEESI_SC_Lm5ESE_iEEiiiiiiiii.num_vgpr, 20
	.set _ZN2at6native12_GLOBAL__N_144conv_depthwise3d_cuda_backward_weight_kernelIN3c104HalfEfLin1ELin1EEEvN5torch10headeronly6detail27GenericPackedTensorAccessorINS7_14TensorAccessorINS3_8ArrayRefIlEEKT_Lm4ENS6_16DefaultPtrTraitsEiEENS_6detail16IndexBoundsCheckILm5EiEESD_Lm5ESE_iEESJ_NS8_INS9_ISB_SC_Lm4ESE_iEESI_SC_Lm5ESE_iEEiiiiiiiii.num_agpr, 0
	.set _ZN2at6native12_GLOBAL__N_144conv_depthwise3d_cuda_backward_weight_kernelIN3c104HalfEfLin1ELin1EEEvN5torch10headeronly6detail27GenericPackedTensorAccessorINS7_14TensorAccessorINS3_8ArrayRefIlEEKT_Lm4ENS6_16DefaultPtrTraitsEiEENS_6detail16IndexBoundsCheckILm5EiEESD_Lm5ESE_iEESJ_NS8_INS9_ISB_SC_Lm4ESE_iEESI_SC_Lm5ESE_iEEiiiiiiiii.numbered_sgpr, 48
	.set _ZN2at6native12_GLOBAL__N_144conv_depthwise3d_cuda_backward_weight_kernelIN3c104HalfEfLin1ELin1EEEvN5torch10headeronly6detail27GenericPackedTensorAccessorINS7_14TensorAccessorINS3_8ArrayRefIlEEKT_Lm4ENS6_16DefaultPtrTraitsEiEENS_6detail16IndexBoundsCheckILm5EiEESD_Lm5ESE_iEESJ_NS8_INS9_ISB_SC_Lm4ESE_iEESI_SC_Lm5ESE_iEEiiiiiiiii.num_named_barrier, 0
	.set _ZN2at6native12_GLOBAL__N_144conv_depthwise3d_cuda_backward_weight_kernelIN3c104HalfEfLin1ELin1EEEvN5torch10headeronly6detail27GenericPackedTensorAccessorINS7_14TensorAccessorINS3_8ArrayRefIlEEKT_Lm4ENS6_16DefaultPtrTraitsEiEENS_6detail16IndexBoundsCheckILm5EiEESD_Lm5ESE_iEESJ_NS8_INS9_ISB_SC_Lm4ESE_iEESI_SC_Lm5ESE_iEEiiiiiiiii.private_seg_size, 0
	.set _ZN2at6native12_GLOBAL__N_144conv_depthwise3d_cuda_backward_weight_kernelIN3c104HalfEfLin1ELin1EEEvN5torch10headeronly6detail27GenericPackedTensorAccessorINS7_14TensorAccessorINS3_8ArrayRefIlEEKT_Lm4ENS6_16DefaultPtrTraitsEiEENS_6detail16IndexBoundsCheckILm5EiEESD_Lm5ESE_iEESJ_NS8_INS9_ISB_SC_Lm4ESE_iEESI_SC_Lm5ESE_iEEiiiiiiiii.uses_vcc, 1
	.set _ZN2at6native12_GLOBAL__N_144conv_depthwise3d_cuda_backward_weight_kernelIN3c104HalfEfLin1ELin1EEEvN5torch10headeronly6detail27GenericPackedTensorAccessorINS7_14TensorAccessorINS3_8ArrayRefIlEEKT_Lm4ENS6_16DefaultPtrTraitsEiEENS_6detail16IndexBoundsCheckILm5EiEESD_Lm5ESE_iEESJ_NS8_INS9_ISB_SC_Lm4ESE_iEESI_SC_Lm5ESE_iEEiiiiiiiii.uses_flat_scratch, 0
	.set _ZN2at6native12_GLOBAL__N_144conv_depthwise3d_cuda_backward_weight_kernelIN3c104HalfEfLin1ELin1EEEvN5torch10headeronly6detail27GenericPackedTensorAccessorINS7_14TensorAccessorINS3_8ArrayRefIlEEKT_Lm4ENS6_16DefaultPtrTraitsEiEENS_6detail16IndexBoundsCheckILm5EiEESD_Lm5ESE_iEESJ_NS8_INS9_ISB_SC_Lm4ESE_iEESI_SC_Lm5ESE_iEEiiiiiiiii.has_dyn_sized_stack, 0
	.set _ZN2at6native12_GLOBAL__N_144conv_depthwise3d_cuda_backward_weight_kernelIN3c104HalfEfLin1ELin1EEEvN5torch10headeronly6detail27GenericPackedTensorAccessorINS7_14TensorAccessorINS3_8ArrayRefIlEEKT_Lm4ENS6_16DefaultPtrTraitsEiEENS_6detail16IndexBoundsCheckILm5EiEESD_Lm5ESE_iEESJ_NS8_INS9_ISB_SC_Lm4ESE_iEESI_SC_Lm5ESE_iEEiiiiiiiii.has_recursion, 0
	.set _ZN2at6native12_GLOBAL__N_144conv_depthwise3d_cuda_backward_weight_kernelIN3c104HalfEfLin1ELin1EEEvN5torch10headeronly6detail27GenericPackedTensorAccessorINS7_14TensorAccessorINS3_8ArrayRefIlEEKT_Lm4ENS6_16DefaultPtrTraitsEiEENS_6detail16IndexBoundsCheckILm5EiEESD_Lm5ESE_iEESJ_NS8_INS9_ISB_SC_Lm4ESE_iEESI_SC_Lm5ESE_iEEiiiiiiiii.has_indirect_call, 0
	.section	.AMDGPU.csdata,"",@progbits
; Kernel info:
; codeLenInByte = 2092
; TotalNumSgprs: 50
; NumVgprs: 20
; ScratchSize: 0
; MemoryBound: 0
; FloatMode: 240
; IeeeMode: 1
; LDSByteSize: 0 bytes/workgroup (compile time only)
; SGPRBlocks: 0
; VGPRBlocks: 1
; NumSGPRsForWavesPerEU: 50
; NumVGPRsForWavesPerEU: 20
; NamedBarCnt: 0
; Occupancy: 16
; WaveLimiterHint : 1
; COMPUTE_PGM_RSRC2:SCRATCH_EN: 0
; COMPUTE_PGM_RSRC2:USER_SGPR: 2
; COMPUTE_PGM_RSRC2:TRAP_HANDLER: 0
; COMPUTE_PGM_RSRC2:TGID_X_EN: 1
; COMPUTE_PGM_RSRC2:TGID_Y_EN: 0
; COMPUTE_PGM_RSRC2:TGID_Z_EN: 0
; COMPUTE_PGM_RSRC2:TIDIG_COMP_CNT: 0
	.section	.text._ZN2at6native12_GLOBAL__N_144conv_depthwise3d_cuda_backward_weight_kernelIN3c108BFloat16EfLi1ELi1EEEvN5torch10headeronly6detail27GenericPackedTensorAccessorINS7_14TensorAccessorINS3_8ArrayRefIlEEKT_Lm4ENS6_16DefaultPtrTraitsEiEENS_6detail16IndexBoundsCheckILm5EiEESD_Lm5ESE_iEESJ_NS8_INS9_ISB_SC_Lm4ESE_iEESI_SC_Lm5ESE_iEEiiiiiiiii,"axG",@progbits,_ZN2at6native12_GLOBAL__N_144conv_depthwise3d_cuda_backward_weight_kernelIN3c108BFloat16EfLi1ELi1EEEvN5torch10headeronly6detail27GenericPackedTensorAccessorINS7_14TensorAccessorINS3_8ArrayRefIlEEKT_Lm4ENS6_16DefaultPtrTraitsEiEENS_6detail16IndexBoundsCheckILm5EiEESD_Lm5ESE_iEESJ_NS8_INS9_ISB_SC_Lm4ESE_iEESI_SC_Lm5ESE_iEEiiiiiiiii,comdat
	.globl	_ZN2at6native12_GLOBAL__N_144conv_depthwise3d_cuda_backward_weight_kernelIN3c108BFloat16EfLi1ELi1EEEvN5torch10headeronly6detail27GenericPackedTensorAccessorINS7_14TensorAccessorINS3_8ArrayRefIlEEKT_Lm4ENS6_16DefaultPtrTraitsEiEENS_6detail16IndexBoundsCheckILm5EiEESD_Lm5ESE_iEESJ_NS8_INS9_ISB_SC_Lm4ESE_iEESI_SC_Lm5ESE_iEEiiiiiiiii ; -- Begin function _ZN2at6native12_GLOBAL__N_144conv_depthwise3d_cuda_backward_weight_kernelIN3c108BFloat16EfLi1ELi1EEEvN5torch10headeronly6detail27GenericPackedTensorAccessorINS7_14TensorAccessorINS3_8ArrayRefIlEEKT_Lm4ENS6_16DefaultPtrTraitsEiEENS_6detail16IndexBoundsCheckILm5EiEESD_Lm5ESE_iEESJ_NS8_INS9_ISB_SC_Lm4ESE_iEESI_SC_Lm5ESE_iEEiiiiiiiii
	.p2align	8
	.type	_ZN2at6native12_GLOBAL__N_144conv_depthwise3d_cuda_backward_weight_kernelIN3c108BFloat16EfLi1ELi1EEEvN5torch10headeronly6detail27GenericPackedTensorAccessorINS7_14TensorAccessorINS3_8ArrayRefIlEEKT_Lm4ENS6_16DefaultPtrTraitsEiEENS_6detail16IndexBoundsCheckILm5EiEESD_Lm5ESE_iEESJ_NS8_INS9_ISB_SC_Lm4ESE_iEESI_SC_Lm5ESE_iEEiiiiiiiii,@function
_ZN2at6native12_GLOBAL__N_144conv_depthwise3d_cuda_backward_weight_kernelIN3c108BFloat16EfLi1ELi1EEEvN5torch10headeronly6detail27GenericPackedTensorAccessorINS7_14TensorAccessorINS3_8ArrayRefIlEEKT_Lm4ENS6_16DefaultPtrTraitsEiEENS_6detail16IndexBoundsCheckILm5EiEESD_Lm5ESE_iEESJ_NS8_INS9_ISB_SC_Lm4ESE_iEESI_SC_Lm5ESE_iEEiiiiiiiii: ; @_ZN2at6native12_GLOBAL__N_144conv_depthwise3d_cuda_backward_weight_kernelIN3c108BFloat16EfLi1ELi1EEEvN5torch10headeronly6detail27GenericPackedTensorAccessorINS7_14TensorAccessorINS3_8ArrayRefIlEEKT_Lm4ENS6_16DefaultPtrTraitsEiEENS_6detail16IndexBoundsCheckILm5EiEESD_Lm5ESE_iEESJ_NS8_INS9_ISB_SC_Lm4ESE_iEESI_SC_Lm5ESE_iEEiiiiiiiii
; %bb.0:
	s_load_b128 s[4:7], s[0:1], 0x70
	s_and_b32 s8, ttmp6, 15
	s_getreg_b32 s9, hwreg(HW_REG_IB_STS2, 6, 4)
	s_load_b128 s[16:19], s[0:1], 0xc
	s_wait_kmcnt 0x0
	s_cvt_f32_u32 s2, s6
	s_delay_alu instid0(SALU_CYCLE_3) | instskip(SKIP_1) | instid1(SALU_CYCLE_1)
	v_rcp_iflag_f32_e32 v1, s2
	s_bfe_u32 s2, ttmp6, 0x4000c
	s_add_co_i32 s2, s2, 1
	s_delay_alu instid0(SALU_CYCLE_1) | instskip(SKIP_1) | instid1(TRANS32_DEP_1)
	s_mul_i32 s2, ttmp9, s2
	v_nop
	v_readfirstlane_b32 s3, v1
	s_add_co_i32 s8, s8, s2
	s_cmp_eq_u32 s9, 0
	s_cselect_b32 s2, ttmp9, s8
	s_mul_f32 s3, s3, 0x4f7ffffe
	s_cvt_f32_u32 s8, s5
	s_sub_co_i32 s9, 0, s6
	s_delay_alu instid0(SALU_CYCLE_1) | instskip(NEXT) | instid1(SALU_CYCLE_1)
	s_cvt_u32_f32 s3, s3
	v_rcp_iflag_f32_e32 v1, s8
	s_delay_alu instid0(SALU_CYCLE_2) | instskip(NEXT) | instid1(SALU_CYCLE_1)
	s_mul_i32 s9, s9, s3
	s_mul_hi_u32 s8, s3, s9
	s_delay_alu instid0(SALU_CYCLE_1) | instskip(SKIP_1) | instid1(TRANS32_DEP_1)
	s_add_co_i32 s3, s3, s8
	v_nop
	v_readfirstlane_b32 s10, v1
	s_mul_hi_u32 s3, s2, s3
	s_cvt_f32_u32 s8, s4
	s_mul_i32 s9, s3, s6
	s_add_co_i32 s11, s3, 1
	s_sub_co_i32 s9, s2, s9
	s_mul_f32 s10, s10, 0x4f7ffffe
	s_sub_co_i32 s12, s9, s6
	s_cmp_ge_u32 s9, s6
	v_rcp_iflag_f32_e32 v1, s8
	s_cselect_b32 s3, s11, s3
	s_cselect_b32 s9, s12, s9
	s_add_co_i32 s11, s3, 1
	s_cmp_ge_u32 s9, s6
	s_cvt_u32_f32 s9, s10
	s_cselect_b32 s20, s11, s3
	s_sub_co_i32 s3, 0, s5
	s_load_b128 s[12:15], s[0:1], 0x3c
	s_mul_i32 s3, s3, s9
	s_delay_alu instid0(SALU_CYCLE_1) | instskip(NEXT) | instid1(SALU_CYCLE_1)
	s_mul_hi_u32 s3, s9, s3
	s_add_co_i32 s9, s9, s3
	s_delay_alu instid0(SALU_CYCLE_1)
	s_mul_hi_u32 s3, s20, s9
	v_nop
	v_readfirstlane_b32 s9, v1
	s_mul_i32 s8, s3, s5
	s_add_co_i32 s10, s3, 1
	s_sub_co_i32 s8, s20, s8
	s_delay_alu instid0(SALU_CYCLE_1)
	s_sub_co_i32 s11, s8, s5
	s_cmp_ge_u32 s8, s5
	s_mul_f32 s9, s9, 0x4f7ffffe
	s_cselect_b32 s3, s10, s3
	s_cselect_b32 s8, s11, s8
	s_add_co_i32 s10, s3, 1
	s_cmp_ge_u32 s8, s5
	s_cvt_u32_f32 s8, s9
	s_cselect_b32 s21, s10, s3
	s_sub_co_i32 s3, 0, s4
	s_delay_alu instid0(SALU_CYCLE_1) | instskip(NEXT) | instid1(SALU_CYCLE_1)
	s_mul_i32 s3, s3, s8
	s_mul_hi_u32 s3, s8, s3
	s_delay_alu instid0(SALU_CYCLE_1) | instskip(NEXT) | instid1(SALU_CYCLE_1)
	s_add_co_i32 s8, s8, s3
	s_mul_hi_u32 s3, s21, s8
	s_delay_alu instid0(SALU_CYCLE_1) | instskip(SKIP_2) | instid1(SALU_CYCLE_1)
	s_mul_i32 s8, s3, s4
	s_add_co_i32 s9, s3, 1
	s_sub_co_i32 s8, s21, s8
	s_sub_co_i32 s10, s8, s4
	s_cmp_ge_u32 s8, s4
	s_cselect_b32 s3, s9, s3
	s_cselect_b32 s8, s10, s8
	s_add_co_i32 s9, s3, 1
	s_cmp_ge_u32 s8, s4
	s_cselect_b32 s27, s9, s3
	s_wait_kmcnt 0x0
	s_abs_i32 s3, s12
	s_abs_i32 s10, s16
	s_cvt_f32_u32 s8, s3
	s_sub_co_i32 s9, 0, s3
	s_delay_alu instid0(SALU_CYCLE_2) | instskip(SKIP_1) | instid1(TRANS32_DEP_1)
	v_rcp_iflag_f32_e32 v1, s8
	v_nop
	v_readfirstlane_b32 s8, v1
	s_mul_f32 s8, s8, 0x4f7ffffe
	s_delay_alu instid0(SALU_CYCLE_3) | instskip(NEXT) | instid1(SALU_CYCLE_3)
	s_cvt_u32_f32 s8, s8
	s_mul_i32 s9, s9, s8
	s_delay_alu instid0(SALU_CYCLE_1) | instskip(NEXT) | instid1(SALU_CYCLE_1)
	s_mul_hi_u32 s9, s8, s9
	s_add_co_i32 s8, s8, s9
	s_xor_b32 s9, s16, s12
	s_mul_hi_u32 s8, s10, s8
	s_ashr_i32 s9, s9, 31
	s_mul_i32 s11, s8, s3
	s_delay_alu instid0(SALU_CYCLE_1)
	s_sub_co_i32 s10, s10, s11
	s_add_co_i32 s11, s8, 1
	s_sub_co_i32 s12, s10, s3
	s_cmp_ge_u32 s10, s3
	s_cselect_b32 s8, s11, s8
	s_cselect_b32 s10, s12, s10
	s_add_co_i32 s11, s8, 1
	s_cmp_ge_u32 s10, s3
	s_cselect_b32 s3, s11, s8
	s_load_b32 s8, s[0:1], 0x68
	s_xor_b32 s3, s3, s9
	s_delay_alu instid0(SALU_CYCLE_1) | instskip(NEXT) | instid1(SALU_CYCLE_1)
	s_sub_co_i32 s23, s3, s9
	s_abs_i32 s22, s23
	s_delay_alu instid0(SALU_CYCLE_1) | instskip(NEXT) | instid1(SALU_CYCLE_3)
	s_cvt_f32_u32 s3, s22
	v_rcp_iflag_f32_e32 v1, s3
	s_mov_b32 s3, 0
	v_nop
	s_delay_alu instid0(TRANS32_DEP_1)
	v_readfirstlane_b32 s24, v1
	s_wait_kmcnt 0x0
	s_cmp_ge_i32 s27, s8
	s_cbranch_scc1 .LBB41_28
; %bb.1:
	s_load_b32 s37, s[0:1], 0x38
	s_add_nc_u64 s[28:29], s[0:1], 0x60
	s_load_b32 s25, s[0:1], 0xc4
	s_load_b128 s[8:11], s[28:29], 0x24
	v_dual_mov_b32 v10, 0 :: v_dual_lshrrev_b32 v1, 5, v0
	s_mul_i32 s6, s20, s6
	s_mul_i32 s5, s21, s5
	;; [unrolled: 1-line block ×3, first 2 shown]
	s_sub_co_i32 s12, s2, s6
	s_sub_co_i32 s16, s20, s5
	;; [unrolled: 1-line block ×3, first 2 shown]
	s_mov_b32 s38, exec_lo
	s_wait_kmcnt 0x0
	s_mul_i32 s37, s37, s17
	s_and_b32 s36, s25, 0xffff
	v_cmpx_gt_i32_e64 s37, v1
	s_cbranch_execz .LBB41_23
; %bb.2:
	s_mul_f32 s2, s24, 0x4f7ffffe
	s_ashr_i32 s6, s27, 31
	s_mov_b32 s39, 0
	v_mov_b32_e32 v10, 0
	s_cvt_u32_f32 s4, s2
	s_sub_co_i32 s2, 0, s22
	s_delay_alu instid0(SALU_CYCLE_2)
	s_mul_i32 s5, s2, s4
	s_abs_i32 s2, s27
	s_mul_hi_u32 s20, s4, s5
	s_mov_b32 s5, s3
	s_add_co_i32 s4, s4, s20
	s_ashr_i32 s20, s23, 31
	s_mul_u64 s[4:5], s[2:3], s[4:5]
	s_lshr_b32 s3, s36, 5
	s_mul_i32 s4, s5, s22
	s_xor_b32 s42, s6, s20
	s_sub_co_i32 s2, s2, s4
	s_add_co_i32 s4, s5, 1
	s_sub_co_i32 s6, s2, s22
	s_cmp_ge_u32 s2, s22
	s_cselect_b32 s4, s4, s5
	s_cselect_b32 s2, s6, s2
	s_add_co_i32 s5, s4, 1
	s_cmp_ge_u32 s2, s22
	s_clause 0x1
	s_load_b128 s[20:23], s[0:1], 0x9c
	s_load_b64 s[40:41], s[0:1], 0xac
	s_cselect_b32 s43, s5, s4
	s_abs_i32 s44, s17
	s_abs_i32 s45, s19
	s_cvt_f32_u32 s2, s44
	s_cvt_f32_u32 s4, s45
	s_sub_co_i32 s5, 0, s44
	s_sub_co_i32 s6, 0, s45
	v_rcp_iflag_f32_e32 v2, s2
	v_rcp_iflag_f32_e32 v3, s4
	s_delay_alu instid0(TRANS32_DEP_2) | instskip(NEXT) | instid1(TRANS32_DEP_1)
	v_readfirstlane_b32 s2, v2
	v_readfirstlane_b32 s4, v3
	s_wait_kmcnt 0x0
	s_mul_i32 s23, s33, s23
	s_mul_f32 s2, s2, 0x4f7ffffe
	s_mul_f32 s4, s4, 0x4f7ffffe
	s_delay_alu instid0(SALU_CYCLE_2) | instskip(NEXT) | instid1(SALU_CYCLE_2)
	s_cvt_u32_f32 s2, s2
	s_cvt_u32_f32 s4, s4
	s_delay_alu instid0(SALU_CYCLE_2) | instskip(NEXT) | instid1(SALU_CYCLE_2)
	s_mul_i32 s5, s5, s2
	s_mul_i32 s6, s6, s4
	s_mul_hi_u32 s5, s2, s5
	s_delay_alu instid0(SALU_CYCLE_1) | instskip(SKIP_4) | instid1(VALU_DEP_2)
	s_add_co_i32 s2, s2, s5
	s_mul_hi_u32 s5, s4, s6
	v_mul_hi_u32 v3, v1, s2
	v_and_b32_e32 v2, 31, v0
	s_add_co_i32 s4, s4, s5
	v_add_nc_u32_e32 v7, 1, v3
	s_delay_alu instid0(VALU_DEP_2)
	v_mul_hi_u32 v4, v2, s4
	v_mul_lo_u32 v5, v3, s44
	s_clause 0x3
	s_load_b64 s[30:31], s[0:1], 0x0
	s_load_b96 s[4:6], s[0:1], 0x1c
	s_load_b64 s[34:35], s[0:1], 0x30
	s_load_b96 s[24:26], s[0:1], 0x4c
	s_wait_xcnt 0x0
	s_ashr_i32 s1, s17, 31
	s_delay_alu instid0(VALU_DEP_2) | instskip(NEXT) | instid1(VALU_DEP_1)
	v_mul_lo_u32 v6, v4, s45
	v_dual_sub_nc_u32 v5, v1, v5 :: v_dual_sub_nc_u32 v6, v2, v6
	s_delay_alu instid0(VALU_DEP_1)
	v_cmp_le_u32_e32 vcc_lo, s44, v5
	v_add_nc_u32_e32 v8, 1, v4
	s_wait_kmcnt 0x0
	s_mul_i32 s0, s5, s27
	s_sub_co_i32 s5, s23, s20
	v_cmp_le_u32_e64 s2, s45, v6
	v_cndmask_b32_e32 v3, v3, v7, vcc_lo
	v_subrev_nc_u32_e32 v7, s44, v5
	v_subrev_nc_u32_e32 v9, s45, v6
	s_delay_alu instid0(VALU_DEP_2) | instskip(NEXT) | instid1(VALU_DEP_2)
	v_dual_cndmask_b32 v4, v4, v8, s2 :: v_dual_cndmask_b32 v5, v5, v7, vcc_lo
	v_dual_add_nc_u32 v7, 1, v3 :: v_dual_cndmask_b32 v6, v6, v9, s2
	s_ashr_i32 s2, s19, 31
	s_delay_alu instid0(VALU_DEP_2) | instskip(NEXT) | instid1(VALU_DEP_2)
	v_cmp_le_u32_e32 vcc_lo, s44, v5
	v_dual_cndmask_b32 v5, v3, v7 :: v_dual_add_nc_u32 v8, 1, v4
	s_delay_alu instid0(VALU_DEP_3) | instskip(NEXT) | instid1(VALU_DEP_2)
	v_cmp_le_u32_e32 vcc_lo, s45, v6
	v_dual_mov_b32 v3, 0 :: v_dual_bitop2_b32 v5, s1, v5 bitop3:0x14
	s_delay_alu instid0(VALU_DEP_3) | instskip(NEXT) | instid1(VALU_DEP_1)
	v_cndmask_b32_e32 v4, v4, v8, vcc_lo
	v_dual_lshlrev_b32 v4, 1, v2 :: v_dual_bitop2_b32 v6, s2, v4 bitop3:0x14
	s_delay_alu instid0(VALU_DEP_3) | instskip(SKIP_1) | instid1(SALU_CYCLE_1)
	v_subrev_nc_u32_e32 v11, s1, v5
	s_xor_b32 s1, s43, s42
	s_sub_co_i32 s1, s1, s42
	s_delay_alu instid0(VALU_DEP_1)
	v_mul_lo_u32 v5, v11, s17
	s_mul_i32 s42, s25, s1
	s_ashr_i32 s1, s0, 31
	s_ashr_i32 s43, s42, 31
	s_lshl_b64 s[0:1], s[0:1], 1
	s_lshl_b64 s[42:43], s[42:43], 1
	s_add_nc_u64 s[30:31], s[30:31], s[0:1]
	s_mul_i32 s0, s16, s40
	s_add_nc_u64 s[34:35], s[34:35], s[42:43]
	s_sub_co_i32 s21, s0, s21
	s_delay_alu instid0(VALU_DEP_1) | instskip(SKIP_2) | instid1(SALU_CYCLE_1)
	v_sub_nc_u32_e32 v13, v1, v5
	v_subrev_nc_u32_e32 v12, s2, v6
	s_mul_i32 s2, s12, s41
	s_sub_co_i32 s20, s2, s22
	s_delay_alu instid0(VALU_DEP_1) | instskip(SKIP_1) | instid1(VALU_DEP_2)
	v_mul_lo_u32 v6, v12, s19
	v_cmp_gt_i32_e32 vcc_lo, s18, v12
	v_sub_nc_u32_e32 v14, v2, v6
	s_branch .LBB41_6
.LBB41_3:                               ;   in Loop: Header=BB41_6 Depth=1
	s_or_b32 exec_lo, exec_lo, s25
.LBB41_4:                               ;   in Loop: Header=BB41_6 Depth=1
	s_delay_alu instid0(SALU_CYCLE_1)
	s_or_b32 exec_lo, exec_lo, s23
.LBB41_5:                               ;   in Loop: Header=BB41_6 Depth=1
	s_delay_alu instid0(SALU_CYCLE_1) | instskip(SKIP_2) | instid1(VALU_DEP_2)
	s_or_b32 exec_lo, exec_lo, s22
	v_add_nc_u32_e32 v1, s3, v1
	v_add_nc_u32_e32 v13, s3, v13
	v_cmp_le_i32_e64 s0, s37, v1
	s_or_b32 s39, s0, s39
	s_delay_alu instid0(SALU_CYCLE_1)
	s_and_not1_b32 exec_lo, exec_lo, s39
	s_cbranch_execz .LBB41_22
.LBB41_6:                               ; =>This Loop Header: Depth=1
                                        ;     Child Loop BB41_8 Depth 2
                                        ;     Child Loop BB41_14 Depth 2
                                        ;       Child Loop BB41_20 Depth 3
	s_mov_b32 s1, exec_lo
	v_cmpx_le_i32_e64 s17, v13
	s_cbranch_execz .LBB41_10
; %bb.7:                                ;   in Loop: Header=BB41_6 Depth=1
	s_mov_b32 s2, 0
.LBB41_8:                               ;   Parent Loop BB41_6 Depth=1
                                        ; =>  This Inner Loop Header: Depth=2
	v_subrev_nc_u32_e32 v13, s17, v13
	v_add_nc_u32_e32 v11, 1, v11
	s_delay_alu instid0(VALU_DEP_2) | instskip(SKIP_1) | instid1(SALU_CYCLE_1)
	v_cmp_gt_i32_e64 s0, s17, v13
	s_or_b32 s2, s0, s2
	s_and_not1_b32 exec_lo, exec_lo, s2
	s_cbranch_execnz .LBB41_8
; %bb.9:                                ;   in Loop: Header=BB41_6 Depth=1
	s_or_b32 exec_lo, exec_lo, s2
.LBB41_10:                              ;   in Loop: Header=BB41_6 Depth=1
	s_delay_alu instid0(SALU_CYCLE_1) | instskip(SKIP_1) | instid1(VALU_DEP_1)
	s_or_b32 exec_lo, exec_lo, s1
	v_mad_u32 v2, v13, s11, s5
	v_cmp_lt_i32_e64 s0, -1, v2
	v_cmp_gt_i32_e64 s1, s13, v2
	s_and_b32 s0, s0, s1
	s_delay_alu instid0(SALU_CYCLE_1)
	s_and_saveexec_b32 s22, s0
	s_cbranch_execz .LBB41_5
; %bb.11:                               ;   in Loop: Header=BB41_6 Depth=1
	s_and_saveexec_b32 s23, vcc_lo
	s_cbranch_execz .LBB41_4
; %bb.12:                               ;   in Loop: Header=BB41_6 Depth=1
	v_mul_lo_u32 v6, s4, v11
	v_mul_lo_u32 v8, s24, v11
	;; [unrolled: 1-line block ×4, first 2 shown]
	v_dual_mov_b32 v5, v3 :: v_dual_mov_b32 v15, v12
	s_mov_b32 s25, 0
	s_delay_alu instid0(VALU_DEP_4) | instskip(NEXT) | instid1(VALU_DEP_3)
	v_dual_ashrrev_i32 v7, 31, v6 :: v_dual_ashrrev_i32 v9, 31, v8
	v_dual_ashrrev_i32 v17, 31, v16 :: v_dual_ashrrev_i32 v19, 31, v18
	s_delay_alu instid0(VALU_DEP_2) | instskip(NEXT) | instid1(VALU_DEP_3)
	v_lshl_add_u64 v[6:7], v[6:7], 1, s[30:31]
	v_lshl_add_u64 v[8:9], v[8:9], 1, s[34:35]
	s_delay_alu instid0(VALU_DEP_2) | instskip(NEXT) | instid1(VALU_DEP_2)
	v_lshl_add_u64 v[16:17], v[16:17], 1, v[6:7]
	v_lshl_add_u64 v[6:7], v[18:19], 1, v[8:9]
	s_delay_alu instid0(VALU_DEP_2)
	v_add_nc_u64_e32 v[8:9], v[16:17], v[4:5]
	v_mov_b32_e32 v5, v14
	s_branch .LBB41_14
.LBB41_13:                              ;   in Loop: Header=BB41_14 Depth=2
	s_or_b32 exec_lo, exec_lo, s1
	s_wait_loadcnt 0x0
	v_lshlrev_b32_e32 v16, 16, v16
	v_cmp_le_i32_e64 s0, s18, v15
	v_add_nc_u64_e32 v[8:9], 64, v[8:9]
	s_delay_alu instid0(VALU_DEP_3) | instskip(SKIP_1) | instid1(SALU_CYCLE_1)
	v_fmac_f32_e32 v10, v2, v16
	s_or_b32 s25, s0, s25
	s_and_not1_b32 exec_lo, exec_lo, s25
	s_cbranch_execz .LBB41_3
.LBB41_14:                              ;   Parent Loop BB41_6 Depth=1
                                        ; =>  This Loop Header: Depth=2
                                        ;       Child Loop BB41_20 Depth 3
	global_load_u16 v16, v[8:9], off
	v_dual_mov_b32 v2, 0 :: v_dual_add_nc_u32 v17, s20, v5
	s_mov_b32 s40, exec_lo
	s_wait_xcnt 0x0
	s_delay_alu instid0(VALU_DEP_1)
	v_cmpx_lt_i32_e32 -1, v17
	s_cbranch_execz .LBB41_18
; %bb.15:                               ;   in Loop: Header=BB41_14 Depth=2
	v_dual_add_nc_u32 v18, s21, v15 :: v_dual_mov_b32 v2, 0
	v_cmp_gt_i32_e64 s0, s15, v17
	s_delay_alu instid0(VALU_DEP_2) | instskip(SKIP_2) | instid1(SALU_CYCLE_1)
	v_cmp_gt_i32_e64 s1, s14, v18
	v_cmp_lt_i32_e64 s2, -1, v18
	s_and_b32 s0, s0, s1
	s_and_b32 s1, s0, s2
	s_delay_alu instid0(SALU_CYCLE_1)
	s_and_saveexec_b32 s0, s1
	s_cbranch_execz .LBB41_17
; %bb.16:                               ;   in Loop: Header=BB41_14 Depth=2
	v_mad_u32 v2, v18, s15, v17
	s_delay_alu instid0(VALU_DEP_1)
	v_lshl_add_u64 v[18:19], v[2:3], 1, v[6:7]
	global_load_u16 v2, v[18:19], off
	s_wait_loadcnt 0x0
	v_lshlrev_b32_e32 v2, 16, v2
.LBB41_17:                              ;   in Loop: Header=BB41_14 Depth=2
	s_or_b32 exec_lo, exec_lo, s0
.LBB41_18:                              ;   in Loop: Header=BB41_14 Depth=2
	s_delay_alu instid0(SALU_CYCLE_1) | instskip(SKIP_2) | instid1(VALU_DEP_1)
	s_or_b32 exec_lo, exec_lo, s40
	v_add_nc_u32_e32 v5, 32, v5
	s_mov_b32 s1, exec_lo
	v_cmpx_le_i32_e64 s19, v5
	s_cbranch_execz .LBB41_13
; %bb.19:                               ;   in Loop: Header=BB41_14 Depth=2
	s_mov_b32 s2, 0
.LBB41_20:                              ;   Parent Loop BB41_6 Depth=1
                                        ;     Parent Loop BB41_14 Depth=2
                                        ; =>    This Inner Loop Header: Depth=3
	v_subrev_nc_u32_e32 v5, s19, v5
	v_add_nc_u32_e32 v15, 1, v15
	s_delay_alu instid0(VALU_DEP_2) | instskip(SKIP_1) | instid1(SALU_CYCLE_1)
	v_cmp_gt_i32_e64 s0, s19, v5
	s_or_b32 s2, s0, s2
	s_and_not1_b32 exec_lo, exec_lo, s2
	s_cbranch_execnz .LBB41_20
; %bb.21:                               ;   in Loop: Header=BB41_14 Depth=2
	s_or_b32 exec_lo, exec_lo, s2
	s_branch .LBB41_13
.LBB41_22:
	s_or_b32 exec_lo, exec_lo, s39
.LBB41_23:
	s_delay_alu instid0(SALU_CYCLE_1)
	s_or_b32 exec_lo, exec_lo, s38
	s_load_b64 s[0:1], s[28:29], 0x0
	v_bfe_u32 v1, v10, 16, 1
	v_cmp_o_f32_e32 vcc_lo, v10, v10
	s_bcnt1_i32_b32 s3, s36
	s_mov_b32 s2, -1
	s_cmp_lg_u32 s3, 1
	v_add3_u32 v1, v10, v1, 0x7fff
	s_delay_alu instid0(VALU_DEP_1) | instskip(SKIP_1) | instid1(VALU_DEP_2)
	v_lshrrev_b32_e32 v2, 16, v1
	v_lshl_add_u32 v1, v0, 1, 0
	v_cndmask_b32_e32 v2, 0x7fc0, v2, vcc_lo
	ds_store_b16 v1, v2
	s_wait_dscnt 0x0
	s_barrier_signal -1
	s_barrier_wait -1
	s_cbranch_scc1 .LBB41_32
; %bb.24:
	s_and_not1_b32 vcc_lo, exec_lo, s2
	s_cbranch_vccnz .LBB41_28
.LBB41_25:
	s_cmp_lt_u32 s36, 2
	s_cbranch_scc0 .LBB41_30
.LBB41_26:
	s_mov_b32 s2, exec_lo
	v_cmpx_eq_u32_e32 0, v0
	s_cbranch_execz .LBB41_28
; %bb.27:
	s_mul_i32 s2, s7, s27
	s_mul_i32 s4, s8, s33
	s_ashr_i32 s3, s2, 31
	s_ashr_i32 s5, s4, 31
	s_lshl_b64 s[2:3], s[2:3], 1
	s_wait_kmcnt 0x0
	s_add_nc_u64 s[0:1], s[0:1], s[2:3]
	s_lshl_b64 s[2:3], s[4:5], 1
	s_mul_i32 s4, s10, s12
	s_delay_alu instid0(SALU_CYCLE_1) | instskip(SKIP_4) | instid1(SALU_CYCLE_1)
	v_dual_mov_b32 v0, 0 :: v_dual_mov_b32 v1, s4
	s_add_nc_u64 s[0:1], s[0:1], s[2:3]
	s_mul_i32 s2, s9, s16
	ds_load_u16 v0, v0
	s_ashr_i32 s3, s2, 31
	s_lshl_b64 s[2:3], s[2:3], 1
	s_delay_alu instid0(SALU_CYCLE_1)
	s_add_nc_u64 s[0:1], s[0:1], s[2:3]
	s_wait_dscnt 0x0
	global_store_b16 v1, v0, s[0:1] scale_offset
.LBB41_28:
	s_endpgm
.LBB41_29:                              ;   in Loop: Header=BB41_30 Depth=1
	s_or_b32 exec_lo, exec_lo, s3
	s_cmp_lt_u32 s36, 4
	s_mov_b32 s36, s2
	s_wait_dscnt 0x0
	s_barrier_signal -1
	s_barrier_wait -1
	s_cbranch_scc1 .LBB41_26
.LBB41_30:                              ; =>This Inner Loop Header: Depth=1
	s_lshr_b32 s2, s36, 1
	s_mov_b32 s3, exec_lo
	v_cmpx_gt_u32_e64 s2, v0
	s_cbranch_execz .LBB41_29
; %bb.31:                               ;   in Loop: Header=BB41_30 Depth=1
	v_lshl_add_u32 v2, s2, 1, v1
	ds_load_u16 v2, v2
	ds_load_u16 v3, v1
	s_wait_dscnt 0x0
	v_dual_lshlrev_b32 v2, 16, v2 :: v_dual_lshlrev_b32 v3, 16, v3
	s_delay_alu instid0(VALU_DEP_1) | instskip(NEXT) | instid1(VALU_DEP_1)
	v_add_f32_e32 v2, v3, v2
	v_bfe_u32 v3, v2, 16, 1
	s_delay_alu instid0(VALU_DEP_1) | instskip(NEXT) | instid1(VALU_DEP_1)
	v_add3_u32 v3, v2, v3, 0x7fff
	v_lshrrev_b32_e32 v3, 16, v3
	v_cmp_o_f32_e32 vcc_lo, v2, v2
	s_delay_alu instid0(VALU_DEP_2)
	v_cndmask_b32_e32 v2, 0x7fc0, v3, vcc_lo
	ds_store_b16 v1, v2
	s_branch .LBB41_29
.LBB41_32:
	s_trap 2
	; divergent unreachable
	s_cbranch_execz .LBB41_25
	s_branch .LBB41_28
	.section	.rodata,"a",@progbits
	.p2align	6, 0x0
	.amdhsa_kernel _ZN2at6native12_GLOBAL__N_144conv_depthwise3d_cuda_backward_weight_kernelIN3c108BFloat16EfLi1ELi1EEEvN5torch10headeronly6detail27GenericPackedTensorAccessorINS7_14TensorAccessorINS3_8ArrayRefIlEEKT_Lm4ENS6_16DefaultPtrTraitsEiEENS_6detail16IndexBoundsCheckILm5EiEESD_Lm5ESE_iEESJ_NS8_INS9_ISB_SC_Lm4ESE_iEESI_SC_Lm5ESE_iEEiiiiiiiii
		.amdhsa_group_segment_fixed_size 0
		.amdhsa_private_segment_fixed_size 0
		.amdhsa_kernarg_size 440
		.amdhsa_user_sgpr_count 2
		.amdhsa_user_sgpr_dispatch_ptr 0
		.amdhsa_user_sgpr_queue_ptr 0
		.amdhsa_user_sgpr_kernarg_segment_ptr 1
		.amdhsa_user_sgpr_dispatch_id 0
		.amdhsa_user_sgpr_kernarg_preload_length 0
		.amdhsa_user_sgpr_kernarg_preload_offset 0
		.amdhsa_user_sgpr_private_segment_size 0
		.amdhsa_wavefront_size32 1
		.amdhsa_uses_dynamic_stack 0
		.amdhsa_enable_private_segment 0
		.amdhsa_system_sgpr_workgroup_id_x 1
		.amdhsa_system_sgpr_workgroup_id_y 0
		.amdhsa_system_sgpr_workgroup_id_z 0
		.amdhsa_system_sgpr_workgroup_info 0
		.amdhsa_system_vgpr_workitem_id 0
		.amdhsa_next_free_vgpr 20
		.amdhsa_next_free_sgpr 46
		.amdhsa_named_barrier_count 0
		.amdhsa_reserve_vcc 1
		.amdhsa_float_round_mode_32 0
		.amdhsa_float_round_mode_16_64 0
		.amdhsa_float_denorm_mode_32 3
		.amdhsa_float_denorm_mode_16_64 3
		.amdhsa_fp16_overflow 0
		.amdhsa_memory_ordered 1
		.amdhsa_forward_progress 1
		.amdhsa_inst_pref_size 18
		.amdhsa_round_robin_scheduling 0
		.amdhsa_exception_fp_ieee_invalid_op 0
		.amdhsa_exception_fp_denorm_src 0
		.amdhsa_exception_fp_ieee_div_zero 0
		.amdhsa_exception_fp_ieee_overflow 0
		.amdhsa_exception_fp_ieee_underflow 0
		.amdhsa_exception_fp_ieee_inexact 0
		.amdhsa_exception_int_div_zero 0
	.end_amdhsa_kernel
	.section	.text._ZN2at6native12_GLOBAL__N_144conv_depthwise3d_cuda_backward_weight_kernelIN3c108BFloat16EfLi1ELi1EEEvN5torch10headeronly6detail27GenericPackedTensorAccessorINS7_14TensorAccessorINS3_8ArrayRefIlEEKT_Lm4ENS6_16DefaultPtrTraitsEiEENS_6detail16IndexBoundsCheckILm5EiEESD_Lm5ESE_iEESJ_NS8_INS9_ISB_SC_Lm4ESE_iEESI_SC_Lm5ESE_iEEiiiiiiiii,"axG",@progbits,_ZN2at6native12_GLOBAL__N_144conv_depthwise3d_cuda_backward_weight_kernelIN3c108BFloat16EfLi1ELi1EEEvN5torch10headeronly6detail27GenericPackedTensorAccessorINS7_14TensorAccessorINS3_8ArrayRefIlEEKT_Lm4ENS6_16DefaultPtrTraitsEiEENS_6detail16IndexBoundsCheckILm5EiEESD_Lm5ESE_iEESJ_NS8_INS9_ISB_SC_Lm4ESE_iEESI_SC_Lm5ESE_iEEiiiiiiiii,comdat
.Lfunc_end41:
	.size	_ZN2at6native12_GLOBAL__N_144conv_depthwise3d_cuda_backward_weight_kernelIN3c108BFloat16EfLi1ELi1EEEvN5torch10headeronly6detail27GenericPackedTensorAccessorINS7_14TensorAccessorINS3_8ArrayRefIlEEKT_Lm4ENS6_16DefaultPtrTraitsEiEENS_6detail16IndexBoundsCheckILm5EiEESD_Lm5ESE_iEESJ_NS8_INS9_ISB_SC_Lm4ESE_iEESI_SC_Lm5ESE_iEEiiiiiiiii, .Lfunc_end41-_ZN2at6native12_GLOBAL__N_144conv_depthwise3d_cuda_backward_weight_kernelIN3c108BFloat16EfLi1ELi1EEEvN5torch10headeronly6detail27GenericPackedTensorAccessorINS7_14TensorAccessorINS3_8ArrayRefIlEEKT_Lm4ENS6_16DefaultPtrTraitsEiEENS_6detail16IndexBoundsCheckILm5EiEESD_Lm5ESE_iEESJ_NS8_INS9_ISB_SC_Lm4ESE_iEESI_SC_Lm5ESE_iEEiiiiiiiii
                                        ; -- End function
	.set _ZN2at6native12_GLOBAL__N_144conv_depthwise3d_cuda_backward_weight_kernelIN3c108BFloat16EfLi1ELi1EEEvN5torch10headeronly6detail27GenericPackedTensorAccessorINS7_14TensorAccessorINS3_8ArrayRefIlEEKT_Lm4ENS6_16DefaultPtrTraitsEiEENS_6detail16IndexBoundsCheckILm5EiEESD_Lm5ESE_iEESJ_NS8_INS9_ISB_SC_Lm4ESE_iEESI_SC_Lm5ESE_iEEiiiiiiiii.num_vgpr, 20
	.set _ZN2at6native12_GLOBAL__N_144conv_depthwise3d_cuda_backward_weight_kernelIN3c108BFloat16EfLi1ELi1EEEvN5torch10headeronly6detail27GenericPackedTensorAccessorINS7_14TensorAccessorINS3_8ArrayRefIlEEKT_Lm4ENS6_16DefaultPtrTraitsEiEENS_6detail16IndexBoundsCheckILm5EiEESD_Lm5ESE_iEESJ_NS8_INS9_ISB_SC_Lm4ESE_iEESI_SC_Lm5ESE_iEEiiiiiiiii.num_agpr, 0
	.set _ZN2at6native12_GLOBAL__N_144conv_depthwise3d_cuda_backward_weight_kernelIN3c108BFloat16EfLi1ELi1EEEvN5torch10headeronly6detail27GenericPackedTensorAccessorINS7_14TensorAccessorINS3_8ArrayRefIlEEKT_Lm4ENS6_16DefaultPtrTraitsEiEENS_6detail16IndexBoundsCheckILm5EiEESD_Lm5ESE_iEESJ_NS8_INS9_ISB_SC_Lm4ESE_iEESI_SC_Lm5ESE_iEEiiiiiiiii.numbered_sgpr, 46
	.set _ZN2at6native12_GLOBAL__N_144conv_depthwise3d_cuda_backward_weight_kernelIN3c108BFloat16EfLi1ELi1EEEvN5torch10headeronly6detail27GenericPackedTensorAccessorINS7_14TensorAccessorINS3_8ArrayRefIlEEKT_Lm4ENS6_16DefaultPtrTraitsEiEENS_6detail16IndexBoundsCheckILm5EiEESD_Lm5ESE_iEESJ_NS8_INS9_ISB_SC_Lm4ESE_iEESI_SC_Lm5ESE_iEEiiiiiiiii.num_named_barrier, 0
	.set _ZN2at6native12_GLOBAL__N_144conv_depthwise3d_cuda_backward_weight_kernelIN3c108BFloat16EfLi1ELi1EEEvN5torch10headeronly6detail27GenericPackedTensorAccessorINS7_14TensorAccessorINS3_8ArrayRefIlEEKT_Lm4ENS6_16DefaultPtrTraitsEiEENS_6detail16IndexBoundsCheckILm5EiEESD_Lm5ESE_iEESJ_NS8_INS9_ISB_SC_Lm4ESE_iEESI_SC_Lm5ESE_iEEiiiiiiiii.private_seg_size, 0
	.set _ZN2at6native12_GLOBAL__N_144conv_depthwise3d_cuda_backward_weight_kernelIN3c108BFloat16EfLi1ELi1EEEvN5torch10headeronly6detail27GenericPackedTensorAccessorINS7_14TensorAccessorINS3_8ArrayRefIlEEKT_Lm4ENS6_16DefaultPtrTraitsEiEENS_6detail16IndexBoundsCheckILm5EiEESD_Lm5ESE_iEESJ_NS8_INS9_ISB_SC_Lm4ESE_iEESI_SC_Lm5ESE_iEEiiiiiiiii.uses_vcc, 1
	.set _ZN2at6native12_GLOBAL__N_144conv_depthwise3d_cuda_backward_weight_kernelIN3c108BFloat16EfLi1ELi1EEEvN5torch10headeronly6detail27GenericPackedTensorAccessorINS7_14TensorAccessorINS3_8ArrayRefIlEEKT_Lm4ENS6_16DefaultPtrTraitsEiEENS_6detail16IndexBoundsCheckILm5EiEESD_Lm5ESE_iEESJ_NS8_INS9_ISB_SC_Lm4ESE_iEESI_SC_Lm5ESE_iEEiiiiiiiii.uses_flat_scratch, 0
	.set _ZN2at6native12_GLOBAL__N_144conv_depthwise3d_cuda_backward_weight_kernelIN3c108BFloat16EfLi1ELi1EEEvN5torch10headeronly6detail27GenericPackedTensorAccessorINS7_14TensorAccessorINS3_8ArrayRefIlEEKT_Lm4ENS6_16DefaultPtrTraitsEiEENS_6detail16IndexBoundsCheckILm5EiEESD_Lm5ESE_iEESJ_NS8_INS9_ISB_SC_Lm4ESE_iEESI_SC_Lm5ESE_iEEiiiiiiiii.has_dyn_sized_stack, 0
	.set _ZN2at6native12_GLOBAL__N_144conv_depthwise3d_cuda_backward_weight_kernelIN3c108BFloat16EfLi1ELi1EEEvN5torch10headeronly6detail27GenericPackedTensorAccessorINS7_14TensorAccessorINS3_8ArrayRefIlEEKT_Lm4ENS6_16DefaultPtrTraitsEiEENS_6detail16IndexBoundsCheckILm5EiEESD_Lm5ESE_iEESJ_NS8_INS9_ISB_SC_Lm4ESE_iEESI_SC_Lm5ESE_iEEiiiiiiiii.has_recursion, 0
	.set _ZN2at6native12_GLOBAL__N_144conv_depthwise3d_cuda_backward_weight_kernelIN3c108BFloat16EfLi1ELi1EEEvN5torch10headeronly6detail27GenericPackedTensorAccessorINS7_14TensorAccessorINS3_8ArrayRefIlEEKT_Lm4ENS6_16DefaultPtrTraitsEiEENS_6detail16IndexBoundsCheckILm5EiEESD_Lm5ESE_iEESJ_NS8_INS9_ISB_SC_Lm4ESE_iEESI_SC_Lm5ESE_iEEiiiiiiiii.has_indirect_call, 0
	.section	.AMDGPU.csdata,"",@progbits
; Kernel info:
; codeLenInByte = 2192
; TotalNumSgprs: 48
; NumVgprs: 20
; ScratchSize: 0
; MemoryBound: 0
; FloatMode: 240
; IeeeMode: 1
; LDSByteSize: 0 bytes/workgroup (compile time only)
; SGPRBlocks: 0
; VGPRBlocks: 1
; NumSGPRsForWavesPerEU: 48
; NumVGPRsForWavesPerEU: 20
; NamedBarCnt: 0
; Occupancy: 16
; WaveLimiterHint : 1
; COMPUTE_PGM_RSRC2:SCRATCH_EN: 0
; COMPUTE_PGM_RSRC2:USER_SGPR: 2
; COMPUTE_PGM_RSRC2:TRAP_HANDLER: 0
; COMPUTE_PGM_RSRC2:TGID_X_EN: 1
; COMPUTE_PGM_RSRC2:TGID_Y_EN: 0
; COMPUTE_PGM_RSRC2:TGID_Z_EN: 0
; COMPUTE_PGM_RSRC2:TIDIG_COMP_CNT: 0
	.section	.text._ZN2at6native12_GLOBAL__N_144conv_depthwise3d_cuda_backward_weight_kernelIN3c108BFloat16EfLi2ELi2EEEvN5torch10headeronly6detail27GenericPackedTensorAccessorINS7_14TensorAccessorINS3_8ArrayRefIlEEKT_Lm4ENS6_16DefaultPtrTraitsEiEENS_6detail16IndexBoundsCheckILm5EiEESD_Lm5ESE_iEESJ_NS8_INS9_ISB_SC_Lm4ESE_iEESI_SC_Lm5ESE_iEEiiiiiiiii,"axG",@progbits,_ZN2at6native12_GLOBAL__N_144conv_depthwise3d_cuda_backward_weight_kernelIN3c108BFloat16EfLi2ELi2EEEvN5torch10headeronly6detail27GenericPackedTensorAccessorINS7_14TensorAccessorINS3_8ArrayRefIlEEKT_Lm4ENS6_16DefaultPtrTraitsEiEENS_6detail16IndexBoundsCheckILm5EiEESD_Lm5ESE_iEESJ_NS8_INS9_ISB_SC_Lm4ESE_iEESI_SC_Lm5ESE_iEEiiiiiiiii,comdat
	.globl	_ZN2at6native12_GLOBAL__N_144conv_depthwise3d_cuda_backward_weight_kernelIN3c108BFloat16EfLi2ELi2EEEvN5torch10headeronly6detail27GenericPackedTensorAccessorINS7_14TensorAccessorINS3_8ArrayRefIlEEKT_Lm4ENS6_16DefaultPtrTraitsEiEENS_6detail16IndexBoundsCheckILm5EiEESD_Lm5ESE_iEESJ_NS8_INS9_ISB_SC_Lm4ESE_iEESI_SC_Lm5ESE_iEEiiiiiiiii ; -- Begin function _ZN2at6native12_GLOBAL__N_144conv_depthwise3d_cuda_backward_weight_kernelIN3c108BFloat16EfLi2ELi2EEEvN5torch10headeronly6detail27GenericPackedTensorAccessorINS7_14TensorAccessorINS3_8ArrayRefIlEEKT_Lm4ENS6_16DefaultPtrTraitsEiEENS_6detail16IndexBoundsCheckILm5EiEESD_Lm5ESE_iEESJ_NS8_INS9_ISB_SC_Lm4ESE_iEESI_SC_Lm5ESE_iEEiiiiiiiii
	.p2align	8
	.type	_ZN2at6native12_GLOBAL__N_144conv_depthwise3d_cuda_backward_weight_kernelIN3c108BFloat16EfLi2ELi2EEEvN5torch10headeronly6detail27GenericPackedTensorAccessorINS7_14TensorAccessorINS3_8ArrayRefIlEEKT_Lm4ENS6_16DefaultPtrTraitsEiEENS_6detail16IndexBoundsCheckILm5EiEESD_Lm5ESE_iEESJ_NS8_INS9_ISB_SC_Lm4ESE_iEESI_SC_Lm5ESE_iEEiiiiiiiii,@function
_ZN2at6native12_GLOBAL__N_144conv_depthwise3d_cuda_backward_weight_kernelIN3c108BFloat16EfLi2ELi2EEEvN5torch10headeronly6detail27GenericPackedTensorAccessorINS7_14TensorAccessorINS3_8ArrayRefIlEEKT_Lm4ENS6_16DefaultPtrTraitsEiEENS_6detail16IndexBoundsCheckILm5EiEESD_Lm5ESE_iEESJ_NS8_INS9_ISB_SC_Lm4ESE_iEESI_SC_Lm5ESE_iEEiiiiiiiii: ; @_ZN2at6native12_GLOBAL__N_144conv_depthwise3d_cuda_backward_weight_kernelIN3c108BFloat16EfLi2ELi2EEEvN5torch10headeronly6detail27GenericPackedTensorAccessorINS7_14TensorAccessorINS3_8ArrayRefIlEEKT_Lm4ENS6_16DefaultPtrTraitsEiEENS_6detail16IndexBoundsCheckILm5EiEESD_Lm5ESE_iEESJ_NS8_INS9_ISB_SC_Lm4ESE_iEESI_SC_Lm5ESE_iEEiiiiiiiii
; %bb.0:
	s_load_b128 s[4:7], s[0:1], 0x70
	s_and_b32 s8, ttmp6, 15
	s_getreg_b32 s9, hwreg(HW_REG_IB_STS2, 6, 4)
	s_load_b128 s[16:19], s[0:1], 0xc
	s_wait_kmcnt 0x0
	s_cvt_f32_u32 s2, s6
	s_delay_alu instid0(SALU_CYCLE_3) | instskip(SKIP_1) | instid1(SALU_CYCLE_1)
	v_rcp_iflag_f32_e32 v1, s2
	s_bfe_u32 s2, ttmp6, 0x4000c
	s_add_co_i32 s2, s2, 1
	s_delay_alu instid0(SALU_CYCLE_1) | instskip(SKIP_1) | instid1(TRANS32_DEP_1)
	s_mul_i32 s2, ttmp9, s2
	v_nop
	v_readfirstlane_b32 s3, v1
	s_add_co_i32 s8, s8, s2
	s_cmp_eq_u32 s9, 0
	s_cselect_b32 s2, ttmp9, s8
	s_mul_f32 s3, s3, 0x4f7ffffe
	s_cvt_f32_u32 s8, s5
	s_sub_co_i32 s9, 0, s6
	s_delay_alu instid0(SALU_CYCLE_1) | instskip(NEXT) | instid1(SALU_CYCLE_1)
	s_cvt_u32_f32 s3, s3
	v_rcp_iflag_f32_e32 v1, s8
	s_delay_alu instid0(SALU_CYCLE_2) | instskip(NEXT) | instid1(SALU_CYCLE_1)
	s_mul_i32 s9, s9, s3
	s_mul_hi_u32 s8, s3, s9
	s_delay_alu instid0(SALU_CYCLE_1) | instskip(SKIP_1) | instid1(TRANS32_DEP_1)
	s_add_co_i32 s3, s3, s8
	v_nop
	v_readfirstlane_b32 s10, v1
	s_mul_hi_u32 s3, s2, s3
	s_cvt_f32_u32 s8, s4
	s_mul_i32 s9, s3, s6
	s_add_co_i32 s11, s3, 1
	s_sub_co_i32 s9, s2, s9
	s_mul_f32 s10, s10, 0x4f7ffffe
	s_sub_co_i32 s12, s9, s6
	s_cmp_ge_u32 s9, s6
	v_rcp_iflag_f32_e32 v1, s8
	s_cselect_b32 s3, s11, s3
	s_cselect_b32 s9, s12, s9
	s_add_co_i32 s11, s3, 1
	s_cmp_ge_u32 s9, s6
	s_cvt_u32_f32 s9, s10
	s_cselect_b32 s20, s11, s3
	s_sub_co_i32 s3, 0, s5
	s_load_b128 s[12:15], s[0:1], 0x3c
	s_mul_i32 s3, s3, s9
	s_delay_alu instid0(SALU_CYCLE_1) | instskip(NEXT) | instid1(SALU_CYCLE_1)
	s_mul_hi_u32 s3, s9, s3
	s_add_co_i32 s9, s9, s3
	s_delay_alu instid0(SALU_CYCLE_1)
	s_mul_hi_u32 s3, s20, s9
	v_nop
	v_readfirstlane_b32 s9, v1
	s_mul_i32 s8, s3, s5
	s_add_co_i32 s10, s3, 1
	s_sub_co_i32 s8, s20, s8
	s_delay_alu instid0(SALU_CYCLE_1)
	s_sub_co_i32 s11, s8, s5
	s_cmp_ge_u32 s8, s5
	s_mul_f32 s9, s9, 0x4f7ffffe
	s_cselect_b32 s3, s10, s3
	s_cselect_b32 s8, s11, s8
	s_add_co_i32 s10, s3, 1
	s_cmp_ge_u32 s8, s5
	s_cvt_u32_f32 s8, s9
	s_cselect_b32 s21, s10, s3
	s_sub_co_i32 s3, 0, s4
	s_delay_alu instid0(SALU_CYCLE_1) | instskip(NEXT) | instid1(SALU_CYCLE_1)
	s_mul_i32 s3, s3, s8
	s_mul_hi_u32 s3, s8, s3
	s_delay_alu instid0(SALU_CYCLE_1) | instskip(NEXT) | instid1(SALU_CYCLE_1)
	s_add_co_i32 s8, s8, s3
	s_mul_hi_u32 s3, s21, s8
	s_delay_alu instid0(SALU_CYCLE_1) | instskip(SKIP_2) | instid1(SALU_CYCLE_1)
	s_mul_i32 s8, s3, s4
	s_add_co_i32 s9, s3, 1
	s_sub_co_i32 s8, s21, s8
	s_sub_co_i32 s10, s8, s4
	s_cmp_ge_u32 s8, s4
	s_cselect_b32 s3, s9, s3
	s_cselect_b32 s8, s10, s8
	s_add_co_i32 s9, s3, 1
	s_cmp_ge_u32 s8, s4
	s_cselect_b32 s27, s9, s3
	s_wait_kmcnt 0x0
	s_abs_i32 s3, s12
	s_abs_i32 s10, s16
	s_cvt_f32_u32 s8, s3
	s_sub_co_i32 s9, 0, s3
	s_delay_alu instid0(SALU_CYCLE_2) | instskip(SKIP_1) | instid1(TRANS32_DEP_1)
	v_rcp_iflag_f32_e32 v1, s8
	v_nop
	v_readfirstlane_b32 s8, v1
	s_mul_f32 s8, s8, 0x4f7ffffe
	s_delay_alu instid0(SALU_CYCLE_3) | instskip(NEXT) | instid1(SALU_CYCLE_3)
	s_cvt_u32_f32 s8, s8
	s_mul_i32 s9, s9, s8
	s_delay_alu instid0(SALU_CYCLE_1) | instskip(NEXT) | instid1(SALU_CYCLE_1)
	s_mul_hi_u32 s9, s8, s9
	s_add_co_i32 s8, s8, s9
	s_xor_b32 s9, s16, s12
	s_mul_hi_u32 s8, s10, s8
	s_ashr_i32 s9, s9, 31
	s_mul_i32 s11, s8, s3
	s_delay_alu instid0(SALU_CYCLE_1)
	s_sub_co_i32 s10, s10, s11
	s_add_co_i32 s11, s8, 1
	s_sub_co_i32 s12, s10, s3
	s_cmp_ge_u32 s10, s3
	s_cselect_b32 s8, s11, s8
	s_cselect_b32 s10, s12, s10
	s_add_co_i32 s11, s8, 1
	s_cmp_ge_u32 s10, s3
	s_cselect_b32 s3, s11, s8
	s_load_b32 s8, s[0:1], 0x68
	s_xor_b32 s3, s3, s9
	s_delay_alu instid0(SALU_CYCLE_1) | instskip(NEXT) | instid1(SALU_CYCLE_1)
	s_sub_co_i32 s23, s3, s9
	s_abs_i32 s22, s23
	s_delay_alu instid0(SALU_CYCLE_1) | instskip(NEXT) | instid1(SALU_CYCLE_3)
	s_cvt_f32_u32 s3, s22
	v_rcp_iflag_f32_e32 v1, s3
	s_mov_b32 s3, 0
	v_nop
	s_delay_alu instid0(TRANS32_DEP_1)
	v_readfirstlane_b32 s24, v1
	s_wait_kmcnt 0x0
	s_cmp_ge_i32 s27, s8
	s_cbranch_scc1 .LBB42_28
; %bb.1:
	s_load_b32 s37, s[0:1], 0x38
	s_add_nc_u64 s[28:29], s[0:1], 0x60
	s_load_b32 s25, s[0:1], 0xc4
	s_load_b128 s[8:11], s[28:29], 0x24
	v_dual_mov_b32 v10, 0 :: v_dual_lshrrev_b32 v1, 5, v0
	s_mul_i32 s6, s20, s6
	s_mul_i32 s5, s21, s5
	s_mul_i32 s4, s27, s4
	s_sub_co_i32 s12, s2, s6
	s_sub_co_i32 s16, s20, s5
	;; [unrolled: 1-line block ×3, first 2 shown]
	s_mov_b32 s38, exec_lo
	s_wait_kmcnt 0x0
	s_mul_i32 s37, s37, s17
	s_and_b32 s36, s25, 0xffff
	v_cmpx_gt_i32_e64 s37, v1
	s_cbranch_execz .LBB42_23
; %bb.2:
	s_mul_f32 s2, s24, 0x4f7ffffe
	s_ashr_i32 s6, s27, 31
	s_mov_b32 s39, 0
	v_mov_b32_e32 v10, 0
	s_cvt_u32_f32 s4, s2
	s_sub_co_i32 s2, 0, s22
	s_delay_alu instid0(SALU_CYCLE_2)
	s_mul_i32 s5, s2, s4
	s_abs_i32 s2, s27
	s_mul_hi_u32 s20, s4, s5
	s_mov_b32 s5, s3
	s_add_co_i32 s4, s4, s20
	s_ashr_i32 s20, s23, 31
	s_mul_u64 s[4:5], s[2:3], s[4:5]
	s_lshr_b32 s3, s36, 5
	s_mul_i32 s4, s5, s22
	s_xor_b32 s42, s6, s20
	s_sub_co_i32 s2, s2, s4
	s_add_co_i32 s4, s5, 1
	s_sub_co_i32 s6, s2, s22
	s_cmp_ge_u32 s2, s22
	s_cselect_b32 s4, s4, s5
	s_cselect_b32 s2, s6, s2
	s_add_co_i32 s5, s4, 1
	s_cmp_ge_u32 s2, s22
	s_clause 0x1
	s_load_b128 s[20:23], s[0:1], 0x9c
	s_load_b64 s[40:41], s[0:1], 0xac
	s_cselect_b32 s43, s5, s4
	s_abs_i32 s44, s17
	s_abs_i32 s45, s19
	s_cvt_f32_u32 s2, s44
	s_cvt_f32_u32 s4, s45
	s_sub_co_i32 s5, 0, s44
	s_sub_co_i32 s6, 0, s45
	v_rcp_iflag_f32_e32 v2, s2
	v_rcp_iflag_f32_e32 v3, s4
	s_delay_alu instid0(TRANS32_DEP_2) | instskip(NEXT) | instid1(TRANS32_DEP_1)
	v_readfirstlane_b32 s2, v2
	v_readfirstlane_b32 s4, v3
	s_wait_kmcnt 0x0
	s_mul_i32 s23, s33, s23
	s_mul_f32 s2, s2, 0x4f7ffffe
	s_mul_f32 s4, s4, 0x4f7ffffe
	s_delay_alu instid0(SALU_CYCLE_2) | instskip(NEXT) | instid1(SALU_CYCLE_2)
	s_cvt_u32_f32 s2, s2
	s_cvt_u32_f32 s4, s4
	s_delay_alu instid0(SALU_CYCLE_2) | instskip(NEXT) | instid1(SALU_CYCLE_2)
	s_mul_i32 s5, s5, s2
	s_mul_i32 s6, s6, s4
	s_mul_hi_u32 s5, s2, s5
	s_delay_alu instid0(SALU_CYCLE_1) | instskip(SKIP_4) | instid1(VALU_DEP_2)
	s_add_co_i32 s2, s2, s5
	s_mul_hi_u32 s5, s4, s6
	v_mul_hi_u32 v3, v1, s2
	v_and_b32_e32 v2, 31, v0
	s_add_co_i32 s4, s4, s5
	v_add_nc_u32_e32 v7, 1, v3
	s_delay_alu instid0(VALU_DEP_2)
	v_mul_hi_u32 v4, v2, s4
	v_mul_lo_u32 v5, v3, s44
	s_clause 0x3
	s_load_b64 s[30:31], s[0:1], 0x0
	s_load_b96 s[4:6], s[0:1], 0x1c
	s_load_b64 s[34:35], s[0:1], 0x30
	s_load_b96 s[24:26], s[0:1], 0x4c
	s_wait_xcnt 0x0
	s_ashr_i32 s1, s17, 31
	s_delay_alu instid0(VALU_DEP_2) | instskip(NEXT) | instid1(VALU_DEP_1)
	v_mul_lo_u32 v6, v4, s45
	v_dual_sub_nc_u32 v5, v1, v5 :: v_dual_sub_nc_u32 v6, v2, v6
	s_delay_alu instid0(VALU_DEP_1)
	v_cmp_le_u32_e32 vcc_lo, s44, v5
	v_add_nc_u32_e32 v8, 1, v4
	s_wait_kmcnt 0x0
	s_mul_i32 s0, s5, s27
	s_sub_co_i32 s5, s23, s20
	v_cmp_le_u32_e64 s2, s45, v6
	v_cndmask_b32_e32 v3, v3, v7, vcc_lo
	v_subrev_nc_u32_e32 v7, s44, v5
	v_subrev_nc_u32_e32 v9, s45, v6
	s_delay_alu instid0(VALU_DEP_2) | instskip(NEXT) | instid1(VALU_DEP_2)
	v_dual_cndmask_b32 v4, v4, v8, s2 :: v_dual_cndmask_b32 v5, v5, v7, vcc_lo
	v_dual_add_nc_u32 v7, 1, v3 :: v_dual_cndmask_b32 v6, v6, v9, s2
	s_ashr_i32 s2, s19, 31
	s_delay_alu instid0(VALU_DEP_2) | instskip(NEXT) | instid1(VALU_DEP_2)
	v_cmp_le_u32_e32 vcc_lo, s44, v5
	v_dual_cndmask_b32 v5, v3, v7 :: v_dual_add_nc_u32 v8, 1, v4
	s_delay_alu instid0(VALU_DEP_3) | instskip(NEXT) | instid1(VALU_DEP_2)
	v_cmp_le_u32_e32 vcc_lo, s45, v6
	v_dual_mov_b32 v3, 0 :: v_dual_bitop2_b32 v5, s1, v5 bitop3:0x14
	s_delay_alu instid0(VALU_DEP_3) | instskip(NEXT) | instid1(VALU_DEP_1)
	v_cndmask_b32_e32 v4, v4, v8, vcc_lo
	v_dual_lshlrev_b32 v4, 1, v2 :: v_dual_bitop2_b32 v6, s2, v4 bitop3:0x14
	s_delay_alu instid0(VALU_DEP_3) | instskip(SKIP_1) | instid1(SALU_CYCLE_1)
	v_subrev_nc_u32_e32 v11, s1, v5
	s_xor_b32 s1, s43, s42
	s_sub_co_i32 s1, s1, s42
	s_delay_alu instid0(VALU_DEP_1)
	v_mul_lo_u32 v5, v11, s17
	s_mul_i32 s42, s25, s1
	s_ashr_i32 s1, s0, 31
	s_ashr_i32 s43, s42, 31
	s_lshl_b64 s[0:1], s[0:1], 1
	s_lshl_b64 s[42:43], s[42:43], 1
	s_add_nc_u64 s[30:31], s[30:31], s[0:1]
	s_mul_i32 s0, s16, s40
	s_add_nc_u64 s[34:35], s[34:35], s[42:43]
	s_sub_co_i32 s21, s0, s21
	s_delay_alu instid0(VALU_DEP_1) | instskip(SKIP_2) | instid1(SALU_CYCLE_1)
	v_sub_nc_u32_e32 v13, v1, v5
	v_subrev_nc_u32_e32 v12, s2, v6
	s_mul_i32 s2, s12, s41
	s_sub_co_i32 s20, s2, s22
	s_delay_alu instid0(VALU_DEP_1) | instskip(SKIP_1) | instid1(VALU_DEP_2)
	v_mul_lo_u32 v6, v12, s19
	v_cmp_gt_i32_e32 vcc_lo, s18, v12
	v_sub_nc_u32_e32 v14, v2, v6
	s_branch .LBB42_6
.LBB42_3:                               ;   in Loop: Header=BB42_6 Depth=1
	s_or_b32 exec_lo, exec_lo, s25
.LBB42_4:                               ;   in Loop: Header=BB42_6 Depth=1
	s_delay_alu instid0(SALU_CYCLE_1)
	s_or_b32 exec_lo, exec_lo, s23
.LBB42_5:                               ;   in Loop: Header=BB42_6 Depth=1
	s_delay_alu instid0(SALU_CYCLE_1) | instskip(SKIP_2) | instid1(VALU_DEP_2)
	s_or_b32 exec_lo, exec_lo, s22
	v_add_nc_u32_e32 v1, s3, v1
	v_add_nc_u32_e32 v13, s3, v13
	v_cmp_le_i32_e64 s0, s37, v1
	s_or_b32 s39, s0, s39
	s_delay_alu instid0(SALU_CYCLE_1)
	s_and_not1_b32 exec_lo, exec_lo, s39
	s_cbranch_execz .LBB42_22
.LBB42_6:                               ; =>This Loop Header: Depth=1
                                        ;     Child Loop BB42_8 Depth 2
                                        ;     Child Loop BB42_14 Depth 2
                                        ;       Child Loop BB42_20 Depth 3
	s_mov_b32 s1, exec_lo
	v_cmpx_le_i32_e64 s17, v13
	s_cbranch_execz .LBB42_10
; %bb.7:                                ;   in Loop: Header=BB42_6 Depth=1
	s_mov_b32 s2, 0
.LBB42_8:                               ;   Parent Loop BB42_6 Depth=1
                                        ; =>  This Inner Loop Header: Depth=2
	v_subrev_nc_u32_e32 v13, s17, v13
	v_add_nc_u32_e32 v11, 1, v11
	s_delay_alu instid0(VALU_DEP_2) | instskip(SKIP_1) | instid1(SALU_CYCLE_1)
	v_cmp_gt_i32_e64 s0, s17, v13
	s_or_b32 s2, s0, s2
	s_and_not1_b32 exec_lo, exec_lo, s2
	s_cbranch_execnz .LBB42_8
; %bb.9:                                ;   in Loop: Header=BB42_6 Depth=1
	s_or_b32 exec_lo, exec_lo, s2
.LBB42_10:                              ;   in Loop: Header=BB42_6 Depth=1
	s_delay_alu instid0(SALU_CYCLE_1) | instskip(SKIP_1) | instid1(VALU_DEP_1)
	s_or_b32 exec_lo, exec_lo, s1
	v_mad_u32 v2, v13, s11, s5
	v_cmp_lt_i32_e64 s0, -1, v2
	v_cmp_gt_i32_e64 s1, s13, v2
	s_and_b32 s0, s0, s1
	s_delay_alu instid0(SALU_CYCLE_1)
	s_and_saveexec_b32 s22, s0
	s_cbranch_execz .LBB42_5
; %bb.11:                               ;   in Loop: Header=BB42_6 Depth=1
	s_and_saveexec_b32 s23, vcc_lo
	s_cbranch_execz .LBB42_4
; %bb.12:                               ;   in Loop: Header=BB42_6 Depth=1
	v_mul_lo_u32 v6, s4, v11
	v_mul_lo_u32 v8, s24, v11
	;; [unrolled: 1-line block ×4, first 2 shown]
	v_dual_mov_b32 v5, v3 :: v_dual_mov_b32 v15, v12
	s_mov_b32 s25, 0
	s_delay_alu instid0(VALU_DEP_4) | instskip(NEXT) | instid1(VALU_DEP_3)
	v_dual_ashrrev_i32 v7, 31, v6 :: v_dual_ashrrev_i32 v9, 31, v8
	v_dual_ashrrev_i32 v17, 31, v16 :: v_dual_ashrrev_i32 v19, 31, v18
	s_delay_alu instid0(VALU_DEP_2) | instskip(NEXT) | instid1(VALU_DEP_3)
	v_lshl_add_u64 v[6:7], v[6:7], 1, s[30:31]
	v_lshl_add_u64 v[8:9], v[8:9], 1, s[34:35]
	s_delay_alu instid0(VALU_DEP_2) | instskip(NEXT) | instid1(VALU_DEP_2)
	v_lshl_add_u64 v[16:17], v[16:17], 1, v[6:7]
	v_lshl_add_u64 v[6:7], v[18:19], 1, v[8:9]
	s_delay_alu instid0(VALU_DEP_2)
	v_add_nc_u64_e32 v[8:9], v[16:17], v[4:5]
	v_mov_b32_e32 v5, v14
	s_branch .LBB42_14
.LBB42_13:                              ;   in Loop: Header=BB42_14 Depth=2
	s_or_b32 exec_lo, exec_lo, s1
	s_wait_loadcnt 0x0
	v_lshlrev_b32_e32 v16, 16, v16
	v_cmp_le_i32_e64 s0, s18, v15
	v_add_nc_u64_e32 v[8:9], 64, v[8:9]
	s_delay_alu instid0(VALU_DEP_3) | instskip(SKIP_1) | instid1(SALU_CYCLE_1)
	v_fmac_f32_e32 v10, v2, v16
	s_or_b32 s25, s0, s25
	s_and_not1_b32 exec_lo, exec_lo, s25
	s_cbranch_execz .LBB42_3
.LBB42_14:                              ;   Parent Loop BB42_6 Depth=1
                                        ; =>  This Loop Header: Depth=2
                                        ;       Child Loop BB42_20 Depth 3
	global_load_u16 v16, v[8:9], off
	v_lshl_add_u32 v17, v5, 1, s20
	v_mov_b32_e32 v2, 0
	s_mov_b32 s40, exec_lo
	s_wait_xcnt 0x0
	s_delay_alu instid0(VALU_DEP_2)
	v_cmpx_lt_i32_e32 -1, v17
	s_cbranch_execz .LBB42_18
; %bb.15:                               ;   in Loop: Header=BB42_14 Depth=2
	v_lshl_add_u32 v18, v15, 1, s21
	v_cmp_gt_i32_e64 s0, s15, v17
	v_mov_b32_e32 v2, 0
	s_delay_alu instid0(VALU_DEP_3) | instskip(SKIP_2) | instid1(SALU_CYCLE_1)
	v_cmp_gt_i32_e64 s1, s14, v18
	v_cmp_lt_i32_e64 s2, -1, v18
	s_and_b32 s0, s0, s1
	s_and_b32 s1, s0, s2
	s_delay_alu instid0(SALU_CYCLE_1)
	s_and_saveexec_b32 s0, s1
	s_cbranch_execz .LBB42_17
; %bb.16:                               ;   in Loop: Header=BB42_14 Depth=2
	v_mad_u32 v2, v18, s15, v17
	s_delay_alu instid0(VALU_DEP_1)
	v_lshl_add_u64 v[18:19], v[2:3], 1, v[6:7]
	global_load_u16 v2, v[18:19], off
	s_wait_loadcnt 0x0
	v_lshlrev_b32_e32 v2, 16, v2
.LBB42_17:                              ;   in Loop: Header=BB42_14 Depth=2
	s_or_b32 exec_lo, exec_lo, s0
.LBB42_18:                              ;   in Loop: Header=BB42_14 Depth=2
	s_delay_alu instid0(SALU_CYCLE_1) | instskip(SKIP_2) | instid1(VALU_DEP_1)
	s_or_b32 exec_lo, exec_lo, s40
	v_add_nc_u32_e32 v5, 32, v5
	s_mov_b32 s1, exec_lo
	v_cmpx_le_i32_e64 s19, v5
	s_cbranch_execz .LBB42_13
; %bb.19:                               ;   in Loop: Header=BB42_14 Depth=2
	s_mov_b32 s2, 0
.LBB42_20:                              ;   Parent Loop BB42_6 Depth=1
                                        ;     Parent Loop BB42_14 Depth=2
                                        ; =>    This Inner Loop Header: Depth=3
	v_subrev_nc_u32_e32 v5, s19, v5
	v_add_nc_u32_e32 v15, 1, v15
	s_delay_alu instid0(VALU_DEP_2) | instskip(SKIP_1) | instid1(SALU_CYCLE_1)
	v_cmp_gt_i32_e64 s0, s19, v5
	s_or_b32 s2, s0, s2
	s_and_not1_b32 exec_lo, exec_lo, s2
	s_cbranch_execnz .LBB42_20
; %bb.21:                               ;   in Loop: Header=BB42_14 Depth=2
	s_or_b32 exec_lo, exec_lo, s2
	s_branch .LBB42_13
.LBB42_22:
	s_or_b32 exec_lo, exec_lo, s39
.LBB42_23:
	s_delay_alu instid0(SALU_CYCLE_1)
	s_or_b32 exec_lo, exec_lo, s38
	s_load_b64 s[0:1], s[28:29], 0x0
	v_bfe_u32 v1, v10, 16, 1
	v_cmp_o_f32_e32 vcc_lo, v10, v10
	s_bcnt1_i32_b32 s3, s36
	s_mov_b32 s2, -1
	s_cmp_lg_u32 s3, 1
	v_add3_u32 v1, v10, v1, 0x7fff
	s_delay_alu instid0(VALU_DEP_1) | instskip(SKIP_1) | instid1(VALU_DEP_2)
	v_lshrrev_b32_e32 v2, 16, v1
	v_lshl_add_u32 v1, v0, 1, 0
	v_cndmask_b32_e32 v2, 0x7fc0, v2, vcc_lo
	ds_store_b16 v1, v2
	s_wait_dscnt 0x0
	s_barrier_signal -1
	s_barrier_wait -1
	s_cbranch_scc1 .LBB42_32
; %bb.24:
	s_and_not1_b32 vcc_lo, exec_lo, s2
	s_cbranch_vccnz .LBB42_28
.LBB42_25:
	s_cmp_lt_u32 s36, 2
	s_cbranch_scc0 .LBB42_30
.LBB42_26:
	s_mov_b32 s2, exec_lo
	v_cmpx_eq_u32_e32 0, v0
	s_cbranch_execz .LBB42_28
; %bb.27:
	s_mul_i32 s2, s7, s27
	s_mul_i32 s4, s8, s33
	s_ashr_i32 s3, s2, 31
	s_ashr_i32 s5, s4, 31
	s_lshl_b64 s[2:3], s[2:3], 1
	s_wait_kmcnt 0x0
	s_add_nc_u64 s[0:1], s[0:1], s[2:3]
	s_lshl_b64 s[2:3], s[4:5], 1
	s_mul_i32 s4, s10, s12
	s_delay_alu instid0(SALU_CYCLE_1) | instskip(SKIP_4) | instid1(SALU_CYCLE_1)
	v_dual_mov_b32 v0, 0 :: v_dual_mov_b32 v1, s4
	s_add_nc_u64 s[0:1], s[0:1], s[2:3]
	s_mul_i32 s2, s9, s16
	ds_load_u16 v0, v0
	s_ashr_i32 s3, s2, 31
	s_lshl_b64 s[2:3], s[2:3], 1
	s_delay_alu instid0(SALU_CYCLE_1)
	s_add_nc_u64 s[0:1], s[0:1], s[2:3]
	s_wait_dscnt 0x0
	global_store_b16 v1, v0, s[0:1] scale_offset
.LBB42_28:
	s_endpgm
.LBB42_29:                              ;   in Loop: Header=BB42_30 Depth=1
	s_or_b32 exec_lo, exec_lo, s3
	s_cmp_lt_u32 s36, 4
	s_mov_b32 s36, s2
	s_wait_dscnt 0x0
	s_barrier_signal -1
	s_barrier_wait -1
	s_cbranch_scc1 .LBB42_26
.LBB42_30:                              ; =>This Inner Loop Header: Depth=1
	s_lshr_b32 s2, s36, 1
	s_mov_b32 s3, exec_lo
	v_cmpx_gt_u32_e64 s2, v0
	s_cbranch_execz .LBB42_29
; %bb.31:                               ;   in Loop: Header=BB42_30 Depth=1
	v_lshl_add_u32 v2, s2, 1, v1
	ds_load_u16 v2, v2
	ds_load_u16 v3, v1
	s_wait_dscnt 0x0
	v_dual_lshlrev_b32 v2, 16, v2 :: v_dual_lshlrev_b32 v3, 16, v3
	s_delay_alu instid0(VALU_DEP_1) | instskip(NEXT) | instid1(VALU_DEP_1)
	v_add_f32_e32 v2, v3, v2
	v_bfe_u32 v3, v2, 16, 1
	s_delay_alu instid0(VALU_DEP_1) | instskip(NEXT) | instid1(VALU_DEP_1)
	v_add3_u32 v3, v2, v3, 0x7fff
	v_lshrrev_b32_e32 v3, 16, v3
	v_cmp_o_f32_e32 vcc_lo, v2, v2
	s_delay_alu instid0(VALU_DEP_2)
	v_cndmask_b32_e32 v2, 0x7fc0, v3, vcc_lo
	ds_store_b16 v1, v2
	s_branch .LBB42_29
.LBB42_32:
	s_trap 2
	; divergent unreachable
	s_cbranch_execz .LBB42_25
	s_branch .LBB42_28
	.section	.rodata,"a",@progbits
	.p2align	6, 0x0
	.amdhsa_kernel _ZN2at6native12_GLOBAL__N_144conv_depthwise3d_cuda_backward_weight_kernelIN3c108BFloat16EfLi2ELi2EEEvN5torch10headeronly6detail27GenericPackedTensorAccessorINS7_14TensorAccessorINS3_8ArrayRefIlEEKT_Lm4ENS6_16DefaultPtrTraitsEiEENS_6detail16IndexBoundsCheckILm5EiEESD_Lm5ESE_iEESJ_NS8_INS9_ISB_SC_Lm4ESE_iEESI_SC_Lm5ESE_iEEiiiiiiiii
		.amdhsa_group_segment_fixed_size 0
		.amdhsa_private_segment_fixed_size 0
		.amdhsa_kernarg_size 440
		.amdhsa_user_sgpr_count 2
		.amdhsa_user_sgpr_dispatch_ptr 0
		.amdhsa_user_sgpr_queue_ptr 0
		.amdhsa_user_sgpr_kernarg_segment_ptr 1
		.amdhsa_user_sgpr_dispatch_id 0
		.amdhsa_user_sgpr_kernarg_preload_length 0
		.amdhsa_user_sgpr_kernarg_preload_offset 0
		.amdhsa_user_sgpr_private_segment_size 0
		.amdhsa_wavefront_size32 1
		.amdhsa_uses_dynamic_stack 0
		.amdhsa_enable_private_segment 0
		.amdhsa_system_sgpr_workgroup_id_x 1
		.amdhsa_system_sgpr_workgroup_id_y 0
		.amdhsa_system_sgpr_workgroup_id_z 0
		.amdhsa_system_sgpr_workgroup_info 0
		.amdhsa_system_vgpr_workitem_id 0
		.amdhsa_next_free_vgpr 20
		.amdhsa_next_free_sgpr 46
		.amdhsa_named_barrier_count 0
		.amdhsa_reserve_vcc 1
		.amdhsa_float_round_mode_32 0
		.amdhsa_float_round_mode_16_64 0
		.amdhsa_float_denorm_mode_32 3
		.amdhsa_float_denorm_mode_16_64 3
		.amdhsa_fp16_overflow 0
		.amdhsa_memory_ordered 1
		.amdhsa_forward_progress 1
		.amdhsa_inst_pref_size 18
		.amdhsa_round_robin_scheduling 0
		.amdhsa_exception_fp_ieee_invalid_op 0
		.amdhsa_exception_fp_denorm_src 0
		.amdhsa_exception_fp_ieee_div_zero 0
		.amdhsa_exception_fp_ieee_overflow 0
		.amdhsa_exception_fp_ieee_underflow 0
		.amdhsa_exception_fp_ieee_inexact 0
		.amdhsa_exception_int_div_zero 0
	.end_amdhsa_kernel
	.section	.text._ZN2at6native12_GLOBAL__N_144conv_depthwise3d_cuda_backward_weight_kernelIN3c108BFloat16EfLi2ELi2EEEvN5torch10headeronly6detail27GenericPackedTensorAccessorINS7_14TensorAccessorINS3_8ArrayRefIlEEKT_Lm4ENS6_16DefaultPtrTraitsEiEENS_6detail16IndexBoundsCheckILm5EiEESD_Lm5ESE_iEESJ_NS8_INS9_ISB_SC_Lm4ESE_iEESI_SC_Lm5ESE_iEEiiiiiiiii,"axG",@progbits,_ZN2at6native12_GLOBAL__N_144conv_depthwise3d_cuda_backward_weight_kernelIN3c108BFloat16EfLi2ELi2EEEvN5torch10headeronly6detail27GenericPackedTensorAccessorINS7_14TensorAccessorINS3_8ArrayRefIlEEKT_Lm4ENS6_16DefaultPtrTraitsEiEENS_6detail16IndexBoundsCheckILm5EiEESD_Lm5ESE_iEESJ_NS8_INS9_ISB_SC_Lm4ESE_iEESI_SC_Lm5ESE_iEEiiiiiiiii,comdat
.Lfunc_end42:
	.size	_ZN2at6native12_GLOBAL__N_144conv_depthwise3d_cuda_backward_weight_kernelIN3c108BFloat16EfLi2ELi2EEEvN5torch10headeronly6detail27GenericPackedTensorAccessorINS7_14TensorAccessorINS3_8ArrayRefIlEEKT_Lm4ENS6_16DefaultPtrTraitsEiEENS_6detail16IndexBoundsCheckILm5EiEESD_Lm5ESE_iEESJ_NS8_INS9_ISB_SC_Lm4ESE_iEESI_SC_Lm5ESE_iEEiiiiiiiii, .Lfunc_end42-_ZN2at6native12_GLOBAL__N_144conv_depthwise3d_cuda_backward_weight_kernelIN3c108BFloat16EfLi2ELi2EEEvN5torch10headeronly6detail27GenericPackedTensorAccessorINS7_14TensorAccessorINS3_8ArrayRefIlEEKT_Lm4ENS6_16DefaultPtrTraitsEiEENS_6detail16IndexBoundsCheckILm5EiEESD_Lm5ESE_iEESJ_NS8_INS9_ISB_SC_Lm4ESE_iEESI_SC_Lm5ESE_iEEiiiiiiiii
                                        ; -- End function
	.set _ZN2at6native12_GLOBAL__N_144conv_depthwise3d_cuda_backward_weight_kernelIN3c108BFloat16EfLi2ELi2EEEvN5torch10headeronly6detail27GenericPackedTensorAccessorINS7_14TensorAccessorINS3_8ArrayRefIlEEKT_Lm4ENS6_16DefaultPtrTraitsEiEENS_6detail16IndexBoundsCheckILm5EiEESD_Lm5ESE_iEESJ_NS8_INS9_ISB_SC_Lm4ESE_iEESI_SC_Lm5ESE_iEEiiiiiiiii.num_vgpr, 20
	.set _ZN2at6native12_GLOBAL__N_144conv_depthwise3d_cuda_backward_weight_kernelIN3c108BFloat16EfLi2ELi2EEEvN5torch10headeronly6detail27GenericPackedTensorAccessorINS7_14TensorAccessorINS3_8ArrayRefIlEEKT_Lm4ENS6_16DefaultPtrTraitsEiEENS_6detail16IndexBoundsCheckILm5EiEESD_Lm5ESE_iEESJ_NS8_INS9_ISB_SC_Lm4ESE_iEESI_SC_Lm5ESE_iEEiiiiiiiii.num_agpr, 0
	.set _ZN2at6native12_GLOBAL__N_144conv_depthwise3d_cuda_backward_weight_kernelIN3c108BFloat16EfLi2ELi2EEEvN5torch10headeronly6detail27GenericPackedTensorAccessorINS7_14TensorAccessorINS3_8ArrayRefIlEEKT_Lm4ENS6_16DefaultPtrTraitsEiEENS_6detail16IndexBoundsCheckILm5EiEESD_Lm5ESE_iEESJ_NS8_INS9_ISB_SC_Lm4ESE_iEESI_SC_Lm5ESE_iEEiiiiiiiii.numbered_sgpr, 46
	.set _ZN2at6native12_GLOBAL__N_144conv_depthwise3d_cuda_backward_weight_kernelIN3c108BFloat16EfLi2ELi2EEEvN5torch10headeronly6detail27GenericPackedTensorAccessorINS7_14TensorAccessorINS3_8ArrayRefIlEEKT_Lm4ENS6_16DefaultPtrTraitsEiEENS_6detail16IndexBoundsCheckILm5EiEESD_Lm5ESE_iEESJ_NS8_INS9_ISB_SC_Lm4ESE_iEESI_SC_Lm5ESE_iEEiiiiiiiii.num_named_barrier, 0
	.set _ZN2at6native12_GLOBAL__N_144conv_depthwise3d_cuda_backward_weight_kernelIN3c108BFloat16EfLi2ELi2EEEvN5torch10headeronly6detail27GenericPackedTensorAccessorINS7_14TensorAccessorINS3_8ArrayRefIlEEKT_Lm4ENS6_16DefaultPtrTraitsEiEENS_6detail16IndexBoundsCheckILm5EiEESD_Lm5ESE_iEESJ_NS8_INS9_ISB_SC_Lm4ESE_iEESI_SC_Lm5ESE_iEEiiiiiiiii.private_seg_size, 0
	.set _ZN2at6native12_GLOBAL__N_144conv_depthwise3d_cuda_backward_weight_kernelIN3c108BFloat16EfLi2ELi2EEEvN5torch10headeronly6detail27GenericPackedTensorAccessorINS7_14TensorAccessorINS3_8ArrayRefIlEEKT_Lm4ENS6_16DefaultPtrTraitsEiEENS_6detail16IndexBoundsCheckILm5EiEESD_Lm5ESE_iEESJ_NS8_INS9_ISB_SC_Lm4ESE_iEESI_SC_Lm5ESE_iEEiiiiiiiii.uses_vcc, 1
	.set _ZN2at6native12_GLOBAL__N_144conv_depthwise3d_cuda_backward_weight_kernelIN3c108BFloat16EfLi2ELi2EEEvN5torch10headeronly6detail27GenericPackedTensorAccessorINS7_14TensorAccessorINS3_8ArrayRefIlEEKT_Lm4ENS6_16DefaultPtrTraitsEiEENS_6detail16IndexBoundsCheckILm5EiEESD_Lm5ESE_iEESJ_NS8_INS9_ISB_SC_Lm4ESE_iEESI_SC_Lm5ESE_iEEiiiiiiiii.uses_flat_scratch, 0
	.set _ZN2at6native12_GLOBAL__N_144conv_depthwise3d_cuda_backward_weight_kernelIN3c108BFloat16EfLi2ELi2EEEvN5torch10headeronly6detail27GenericPackedTensorAccessorINS7_14TensorAccessorINS3_8ArrayRefIlEEKT_Lm4ENS6_16DefaultPtrTraitsEiEENS_6detail16IndexBoundsCheckILm5EiEESD_Lm5ESE_iEESJ_NS8_INS9_ISB_SC_Lm4ESE_iEESI_SC_Lm5ESE_iEEiiiiiiiii.has_dyn_sized_stack, 0
	.set _ZN2at6native12_GLOBAL__N_144conv_depthwise3d_cuda_backward_weight_kernelIN3c108BFloat16EfLi2ELi2EEEvN5torch10headeronly6detail27GenericPackedTensorAccessorINS7_14TensorAccessorINS3_8ArrayRefIlEEKT_Lm4ENS6_16DefaultPtrTraitsEiEENS_6detail16IndexBoundsCheckILm5EiEESD_Lm5ESE_iEESJ_NS8_INS9_ISB_SC_Lm4ESE_iEESI_SC_Lm5ESE_iEEiiiiiiiii.has_recursion, 0
	.set _ZN2at6native12_GLOBAL__N_144conv_depthwise3d_cuda_backward_weight_kernelIN3c108BFloat16EfLi2ELi2EEEvN5torch10headeronly6detail27GenericPackedTensorAccessorINS7_14TensorAccessorINS3_8ArrayRefIlEEKT_Lm4ENS6_16DefaultPtrTraitsEiEENS_6detail16IndexBoundsCheckILm5EiEESD_Lm5ESE_iEESJ_NS8_INS9_ISB_SC_Lm4ESE_iEESI_SC_Lm5ESE_iEEiiiiiiiii.has_indirect_call, 0
	.section	.AMDGPU.csdata,"",@progbits
; Kernel info:
; codeLenInByte = 2196
; TotalNumSgprs: 48
; NumVgprs: 20
; ScratchSize: 0
; MemoryBound: 0
; FloatMode: 240
; IeeeMode: 1
; LDSByteSize: 0 bytes/workgroup (compile time only)
; SGPRBlocks: 0
; VGPRBlocks: 1
; NumSGPRsForWavesPerEU: 48
; NumVGPRsForWavesPerEU: 20
; NamedBarCnt: 0
; Occupancy: 16
; WaveLimiterHint : 1
; COMPUTE_PGM_RSRC2:SCRATCH_EN: 0
; COMPUTE_PGM_RSRC2:USER_SGPR: 2
; COMPUTE_PGM_RSRC2:TRAP_HANDLER: 0
; COMPUTE_PGM_RSRC2:TGID_X_EN: 1
; COMPUTE_PGM_RSRC2:TGID_Y_EN: 0
; COMPUTE_PGM_RSRC2:TGID_Z_EN: 0
; COMPUTE_PGM_RSRC2:TIDIG_COMP_CNT: 0
	.section	.text._ZN2at6native12_GLOBAL__N_144conv_depthwise3d_cuda_backward_weight_kernelIN3c108BFloat16EfLin1ELin1EEEvN5torch10headeronly6detail27GenericPackedTensorAccessorINS7_14TensorAccessorINS3_8ArrayRefIlEEKT_Lm4ENS6_16DefaultPtrTraitsEiEENS_6detail16IndexBoundsCheckILm5EiEESD_Lm5ESE_iEESJ_NS8_INS9_ISB_SC_Lm4ESE_iEESI_SC_Lm5ESE_iEEiiiiiiiii,"axG",@progbits,_ZN2at6native12_GLOBAL__N_144conv_depthwise3d_cuda_backward_weight_kernelIN3c108BFloat16EfLin1ELin1EEEvN5torch10headeronly6detail27GenericPackedTensorAccessorINS7_14TensorAccessorINS3_8ArrayRefIlEEKT_Lm4ENS6_16DefaultPtrTraitsEiEENS_6detail16IndexBoundsCheckILm5EiEESD_Lm5ESE_iEESJ_NS8_INS9_ISB_SC_Lm4ESE_iEESI_SC_Lm5ESE_iEEiiiiiiiii,comdat
	.globl	_ZN2at6native12_GLOBAL__N_144conv_depthwise3d_cuda_backward_weight_kernelIN3c108BFloat16EfLin1ELin1EEEvN5torch10headeronly6detail27GenericPackedTensorAccessorINS7_14TensorAccessorINS3_8ArrayRefIlEEKT_Lm4ENS6_16DefaultPtrTraitsEiEENS_6detail16IndexBoundsCheckILm5EiEESD_Lm5ESE_iEESJ_NS8_INS9_ISB_SC_Lm4ESE_iEESI_SC_Lm5ESE_iEEiiiiiiiii ; -- Begin function _ZN2at6native12_GLOBAL__N_144conv_depthwise3d_cuda_backward_weight_kernelIN3c108BFloat16EfLin1ELin1EEEvN5torch10headeronly6detail27GenericPackedTensorAccessorINS7_14TensorAccessorINS3_8ArrayRefIlEEKT_Lm4ENS6_16DefaultPtrTraitsEiEENS_6detail16IndexBoundsCheckILm5EiEESD_Lm5ESE_iEESJ_NS8_INS9_ISB_SC_Lm4ESE_iEESI_SC_Lm5ESE_iEEiiiiiiiii
	.p2align	8
	.type	_ZN2at6native12_GLOBAL__N_144conv_depthwise3d_cuda_backward_weight_kernelIN3c108BFloat16EfLin1ELin1EEEvN5torch10headeronly6detail27GenericPackedTensorAccessorINS7_14TensorAccessorINS3_8ArrayRefIlEEKT_Lm4ENS6_16DefaultPtrTraitsEiEENS_6detail16IndexBoundsCheckILm5EiEESD_Lm5ESE_iEESJ_NS8_INS9_ISB_SC_Lm4ESE_iEESI_SC_Lm5ESE_iEEiiiiiiiii,@function
_ZN2at6native12_GLOBAL__N_144conv_depthwise3d_cuda_backward_weight_kernelIN3c108BFloat16EfLin1ELin1EEEvN5torch10headeronly6detail27GenericPackedTensorAccessorINS7_14TensorAccessorINS3_8ArrayRefIlEEKT_Lm4ENS6_16DefaultPtrTraitsEiEENS_6detail16IndexBoundsCheckILm5EiEESD_Lm5ESE_iEESJ_NS8_INS9_ISB_SC_Lm4ESE_iEESI_SC_Lm5ESE_iEEiiiiiiiii: ; @_ZN2at6native12_GLOBAL__N_144conv_depthwise3d_cuda_backward_weight_kernelIN3c108BFloat16EfLin1ELin1EEEvN5torch10headeronly6detail27GenericPackedTensorAccessorINS7_14TensorAccessorINS3_8ArrayRefIlEEKT_Lm4ENS6_16DefaultPtrTraitsEiEENS_6detail16IndexBoundsCheckILm5EiEESD_Lm5ESE_iEESJ_NS8_INS9_ISB_SC_Lm4ESE_iEESI_SC_Lm5ESE_iEEiiiiiiiii
; %bb.0:
	s_load_b128 s[12:15], s[0:1], 0x70
	s_and_b32 s4, ttmp6, 15
	s_getreg_b32 s5, hwreg(HW_REG_IB_STS2, 6, 4)
	s_clause 0x1
	s_load_b128 s[16:19], s[0:1], 0x3c
	s_load_b128 s[20:23], s[0:1], 0xc
	s_wait_kmcnt 0x0
	s_cvt_f32_u32 s2, s14
	s_delay_alu instid0(SALU_CYCLE_3) | instskip(SKIP_1) | instid1(SALU_CYCLE_1)
	v_rcp_iflag_f32_e32 v1, s2
	s_bfe_u32 s2, ttmp6, 0x4000c
	s_add_co_i32 s2, s2, 1
	s_delay_alu instid0(SALU_CYCLE_1) | instskip(NEXT) | instid1(SALU_CYCLE_1)
	s_mul_i32 s2, ttmp9, s2
	s_add_co_i32 s4, s4, s2
	v_nop
	s_delay_alu instid0(TRANS32_DEP_1)
	v_readfirstlane_b32 s3, v1
	s_cmp_eq_u32 s5, 0
	s_cselect_b32 s2, ttmp9, s4
	s_cvt_f32_u32 s4, s13
	s_mul_f32 s3, s3, 0x4f7ffffe
	s_sub_co_i32 s5, 0, s14
	s_delay_alu instid0(SALU_CYCLE_1) | instskip(NEXT) | instid1(SALU_CYCLE_1)
	v_rcp_iflag_f32_e32 v1, s4
	s_cvt_u32_f32 s3, s3
	s_delay_alu instid0(SALU_CYCLE_3) | instskip(NEXT) | instid1(SALU_CYCLE_1)
	s_mul_i32 s5, s5, s3
	s_mul_hi_u32 s4, s3, s5
	v_nop
	s_delay_alu instid0(TRANS32_DEP_1) | instskip(SKIP_3) | instid1(SALU_CYCLE_1)
	v_readfirstlane_b32 s6, v1
	s_add_co_i32 s3, s3, s4
	s_cvt_f32_u32 s4, s12
	s_mul_hi_u32 s3, s2, s3
	s_mul_i32 s5, s3, s14
	s_add_co_i32 s7, s3, 1
	s_sub_co_i32 s5, s2, s5
	s_mul_f32 s6, s6, 0x4f7ffffe
	s_sub_co_i32 s8, s5, s14
	s_cmp_ge_u32 s5, s14
	v_rcp_iflag_f32_e32 v1, s4
	s_cselect_b32 s3, s7, s3
	s_cselect_b32 s5, s8, s5
	s_add_co_i32 s7, s3, 1
	s_cmp_ge_u32 s5, s14
	s_cvt_u32_f32 s5, s6
	s_cselect_b32 s28, s7, s3
	s_sub_co_i32 s3, 0, s13
	s_delay_alu instid0(SALU_CYCLE_1) | instskip(NEXT) | instid1(SALU_CYCLE_1)
	s_mul_i32 s3, s3, s5
	s_mul_hi_u32 s3, s5, s3
	s_delay_alu instid0(SALU_CYCLE_1) | instskip(NEXT) | instid1(SALU_CYCLE_1)
	s_add_co_i32 s5, s5, s3
	s_mul_hi_u32 s3, s28, s5
	v_nop
	v_readfirstlane_b32 s5, v1
	s_mul_i32 s4, s3, s13
	s_add_co_i32 s6, s3, 1
	s_sub_co_i32 s4, s28, s4
	s_delay_alu instid0(SALU_CYCLE_1)
	s_sub_co_i32 s7, s4, s13
	s_cmp_ge_u32 s4, s13
	s_mul_f32 s5, s5, 0x4f7ffffe
	s_cselect_b32 s3, s6, s3
	s_cselect_b32 s4, s7, s4
	s_add_co_i32 s6, s3, 1
	s_cmp_ge_u32 s4, s13
	s_cvt_u32_f32 s4, s5
	s_cselect_b32 s29, s6, s3
	s_sub_co_i32 s3, 0, s12
	s_delay_alu instid0(SALU_CYCLE_1) | instskip(NEXT) | instid1(SALU_CYCLE_1)
	s_mul_i32 s3, s3, s4
	s_mul_hi_u32 s3, s4, s3
	s_delay_alu instid0(SALU_CYCLE_1) | instskip(NEXT) | instid1(SALU_CYCLE_1)
	s_add_co_i32 s4, s4, s3
	s_mul_hi_u32 s3, s29, s4
	s_delay_alu instid0(SALU_CYCLE_1) | instskip(SKIP_2) | instid1(SALU_CYCLE_1)
	s_mul_i32 s4, s3, s12
	s_add_co_i32 s5, s3, 1
	s_sub_co_i32 s4, s29, s4
	s_sub_co_i32 s6, s4, s12
	s_cmp_ge_u32 s4, s12
	s_cselect_b32 s3, s5, s3
	s_cselect_b32 s4, s6, s4
	s_add_co_i32 s5, s3, 1
	s_cmp_ge_u32 s4, s12
	s_cselect_b32 s31, s5, s3
	s_abs_i32 s3, s16
	s_abs_i32 s6, s20
	s_cvt_f32_u32 s4, s3
	s_sub_co_i32 s5, 0, s3
	s_delay_alu instid0(SALU_CYCLE_2) | instskip(SKIP_1) | instid1(TRANS32_DEP_1)
	v_rcp_iflag_f32_e32 v1, s4
	v_nop
	v_readfirstlane_b32 s4, v1
	s_mul_f32 s4, s4, 0x4f7ffffe
	s_delay_alu instid0(SALU_CYCLE_3) | instskip(NEXT) | instid1(SALU_CYCLE_3)
	s_cvt_u32_f32 s4, s4
	s_mul_i32 s5, s5, s4
	s_delay_alu instid0(SALU_CYCLE_1) | instskip(NEXT) | instid1(SALU_CYCLE_1)
	s_mul_hi_u32 s5, s4, s5
	s_add_co_i32 s4, s4, s5
	s_xor_b32 s5, s20, s16
	s_mul_hi_u32 s4, s6, s4
	s_ashr_i32 s5, s5, 31
	s_mul_i32 s7, s4, s3
	s_delay_alu instid0(SALU_CYCLE_1)
	s_sub_co_i32 s6, s6, s7
	s_add_co_i32 s7, s4, 1
	s_sub_co_i32 s8, s6, s3
	s_cmp_ge_u32 s6, s3
	s_cselect_b32 s4, s7, s4
	s_cselect_b32 s6, s8, s6
	s_add_co_i32 s7, s4, 1
	s_cmp_ge_u32 s6, s3
	s_cselect_b32 s3, s7, s4
	s_load_b32 s4, s[0:1], 0x68
	s_xor_b32 s3, s3, s5
	s_delay_alu instid0(SALU_CYCLE_1) | instskip(NEXT) | instid1(SALU_CYCLE_1)
	s_sub_co_i32 s36, s3, s5
	s_abs_i32 s30, s36
	s_delay_alu instid0(SALU_CYCLE_1) | instskip(NEXT) | instid1(SALU_CYCLE_3)
	s_cvt_f32_u32 s3, s30
	v_rcp_iflag_f32_e32 v1, s3
	s_mov_b32 s3, 0
	v_nop
	s_delay_alu instid0(TRANS32_DEP_1)
	v_readfirstlane_b32 s37, v1
	s_wait_kmcnt 0x0
	s_cmp_ge_i32 s31, s4
	s_cbranch_scc1 .LBB43_28
; %bb.1:
	s_load_b32 s41, s[0:1], 0x38
	s_add_nc_u64 s[34:35], s[0:1], 0x60
	s_load_b32 s38, s[0:1], 0xc4
	s_clause 0x1
	s_load_b128 s[24:27], s[34:35], 0x44
	s_load_b256 s[4:11], s[34:35], 0x24
	v_dual_mov_b32 v10, 0 :: v_dual_lshrrev_b32 v1, 5, v0
	s_mul_i32 s14, s28, s14
	s_mul_i32 s13, s29, s13
	;; [unrolled: 1-line block ×3, first 2 shown]
	s_sub_co_i32 s16, s2, s14
	s_sub_co_i32 s20, s28, s13
	;; [unrolled: 1-line block ×3, first 2 shown]
	s_mov_b32 s42, exec_lo
	s_wait_kmcnt 0x0
	s_and_b32 s40, s38, 0xffff
	s_mul_i32 s41, s41, s21
	s_delay_alu instid0(SALU_CYCLE_1)
	v_cmpx_gt_i32_e64 s41, v1
	s_cbranch_execz .LBB43_23
; %bb.2:
	s_mul_f32 s2, s37, 0x4f7ffffe
	s_ashr_i32 s14, s31, 31
	s_mov_b32 s43, 0
	v_mov_b32_e32 v10, 0
	s_cvt_u32_f32 s12, s2
	s_sub_co_i32 s2, 0, s30
	s_delay_alu instid0(SALU_CYCLE_2)
	s_mul_i32 s13, s2, s12
	s_abs_i32 s2, s31
	s_mul_hi_u32 s28, s12, s13
	s_mov_b32 s13, s3
	s_add_co_i32 s12, s12, s28
	s_ashr_i32 s28, s36, 31
	s_mul_u64 s[12:13], s[2:3], s[12:13]
	s_lshr_b32 s3, s40, 5
	s_mul_i32 s12, s13, s30
	s_xor_b32 s44, s14, s28
	s_sub_co_i32 s2, s2, s12
	s_add_co_i32 s12, s13, 1
	s_sub_co_i32 s14, s2, s30
	s_cmp_ge_u32 s2, s30
	s_cselect_b32 s12, s12, s13
	s_cselect_b32 s2, s14, s2
	s_add_co_i32 s13, s12, 1
	s_cmp_ge_u32 s2, s30
	s_cselect_b32 s45, s13, s12
	s_abs_i32 s46, s21
	s_abs_i32 s47, s23
	s_cvt_f32_u32 s2, s46
	s_cvt_f32_u32 s12, s47
	s_sub_co_i32 s13, 0, s46
	s_sub_co_i32 s14, 0, s47
	v_rcp_iflag_f32_e32 v2, s2
	v_rcp_iflag_f32_e32 v3, s12
	s_delay_alu instid0(TRANS32_DEP_2) | instskip(NEXT) | instid1(TRANS32_DEP_1)
	v_readfirstlane_b32 s2, v2
	v_readfirstlane_b32 s12, v3
	s_mul_f32 s2, s2, 0x4f7ffffe
	s_mul_f32 s12, s12, 0x4f7ffffe
	s_delay_alu instid0(SALU_CYCLE_2) | instskip(NEXT) | instid1(SALU_CYCLE_2)
	s_cvt_u32_f32 s2, s2
	s_cvt_u32_f32 s12, s12
	s_delay_alu instid0(SALU_CYCLE_2) | instskip(NEXT) | instid1(SALU_CYCLE_2)
	s_mul_i32 s13, s13, s2
	s_mul_i32 s14, s14, s12
	s_mul_hi_u32 s13, s2, s13
	s_delay_alu instid0(SALU_CYCLE_1) | instskip(SKIP_3) | instid1(VALU_DEP_1)
	s_add_co_i32 s2, s2, s13
	s_mul_hi_u32 s13, s12, s14
	v_mul_hi_u32 v3, v1, s2
	s_add_co_i32 s12, s12, s13
	v_mul_lo_u32 v5, v3, s46
	s_delay_alu instid0(VALU_DEP_1) | instskip(NEXT) | instid1(VALU_DEP_1)
	v_dual_sub_nc_u32 v5, v1, v5 :: v_dual_bitop2_b32 v2, 31, v0 bitop3:0x40
	v_mul_hi_u32 v4, v2, s12
	s_clause 0x3
	s_load_b64 s[36:37], s[0:1], 0x0
	s_load_b96 s[12:14], s[0:1], 0x1c
	s_load_b64 s[38:39], s[0:1], 0x30
	s_load_b96 s[28:30], s[0:1], 0x4c
	s_wait_xcnt 0x0
	s_ashr_i32 s0, s21, 31
	v_cmp_le_u32_e32 vcc_lo, s46, v5
	s_mul_i32 s1, s33, s25
	s_mul_i32 s25, s16, s27
	s_sub_co_i32 s10, s1, s10
	v_mul_lo_u32 v6, v4, s47
	s_delay_alu instid0(VALU_DEP_1) | instskip(NEXT) | instid1(VALU_DEP_1)
	v_dual_add_nc_u32 v7, 1, v3 :: v_dual_sub_nc_u32 v6, v2, v6
	v_dual_cndmask_b32 v3, v3, v7 :: v_dual_add_nc_u32 v8, 1, v4
	v_subrev_nc_u32_e32 v7, s46, v5
	s_delay_alu instid0(VALU_DEP_3) | instskip(NEXT) | instid1(VALU_DEP_1)
	v_cmp_le_u32_e64 s2, s47, v6
	v_dual_cndmask_b32 v5, v5, v7, vcc_lo :: v_dual_cndmask_b32 v4, v4, v8, s2
	v_subrev_nc_u32_e32 v8, s47, v6
	v_add_nc_u32_e32 v7, 1, v3
	s_delay_alu instid0(VALU_DEP_3) | instskip(NEXT) | instid1(VALU_DEP_3)
	v_cmp_le_u32_e32 vcc_lo, s46, v5
	v_cndmask_b32_e64 v6, v6, v8, s2
	s_delay_alu instid0(VALU_DEP_3) | instskip(SKIP_1) | instid1(VALU_DEP_2)
	v_dual_cndmask_b32 v3, v3, v7 :: v_dual_add_nc_u32 v8, 1, v4
	s_ashr_i32 s2, s23, 31
	v_cmp_le_u32_e32 vcc_lo, s47, v6
	s_delay_alu instid0(VALU_DEP_2) | instskip(NEXT) | instid1(VALU_DEP_3)
	v_dual_mov_b32 v3, 0 :: v_dual_bitop2_b32 v5, s0, v3 bitop3:0x14
	v_cndmask_b32_e32 v4, v4, v8, vcc_lo
	s_delay_alu instid0(VALU_DEP_2)
	v_subrev_nc_u32_e32 v11, s0, v5
	s_wait_kmcnt 0x0
	s_mul_i32 s0, s13, s31
	s_sub_co_i32 s13, s25, s24
	v_xor_b32_e32 v6, s2, v4
	s_ashr_i32 s1, s0, 31
	v_mul_lo_u32 v5, v11, s21
	s_lshl_b64 s[0:1], s[0:1], 1
	v_lshlrev_b32_e32 v4, 1, v2
	v_subrev_nc_u32_e32 v12, s2, v6
	s_xor_b32 s2, s45, s44
	s_add_nc_u64 s[36:37], s[36:37], s[0:1]
	s_sub_co_i32 s2, s2, s44
	s_mul_i32 s0, s20, s26
	v_mul_lo_u32 v6, v12, s23
	s_mul_i32 s44, s29, s2
	s_sub_co_i32 s11, s0, s11
	s_ashr_i32 s45, s44, 31
	v_sub_nc_u32_e32 v13, v1, v5
	s_lshl_b64 s[44:45], s[44:45], 1
	v_cmp_gt_i32_e32 vcc_lo, s22, v12
	s_add_nc_u64 s[38:39], s[38:39], s[44:45]
	s_delay_alu instid0(VALU_DEP_3)
	v_sub_nc_u32_e32 v14, v2, v6
	s_branch .LBB43_6
.LBB43_3:                               ;   in Loop: Header=BB43_6 Depth=1
	s_or_b32 exec_lo, exec_lo, s26
.LBB43_4:                               ;   in Loop: Header=BB43_6 Depth=1
	s_delay_alu instid0(SALU_CYCLE_1)
	s_or_b32 exec_lo, exec_lo, s25
.LBB43_5:                               ;   in Loop: Header=BB43_6 Depth=1
	s_delay_alu instid0(SALU_CYCLE_1) | instskip(SKIP_2) | instid1(VALU_DEP_2)
	s_or_b32 exec_lo, exec_lo, s24
	v_add_nc_u32_e32 v1, s3, v1
	v_add_nc_u32_e32 v13, s3, v13
	v_cmp_le_i32_e64 s0, s41, v1
	s_or_b32 s43, s0, s43
	s_delay_alu instid0(SALU_CYCLE_1)
	s_and_not1_b32 exec_lo, exec_lo, s43
	s_cbranch_execz .LBB43_22
.LBB43_6:                               ; =>This Loop Header: Depth=1
                                        ;     Child Loop BB43_8 Depth 2
                                        ;     Child Loop BB43_14 Depth 2
                                        ;       Child Loop BB43_20 Depth 3
	s_mov_b32 s1, exec_lo
	v_cmpx_le_i32_e64 s21, v13
	s_cbranch_execz .LBB43_10
; %bb.7:                                ;   in Loop: Header=BB43_6 Depth=1
	s_mov_b32 s2, 0
.LBB43_8:                               ;   Parent Loop BB43_6 Depth=1
                                        ; =>  This Inner Loop Header: Depth=2
	v_subrev_nc_u32_e32 v13, s21, v13
	v_add_nc_u32_e32 v11, 1, v11
	s_delay_alu instid0(VALU_DEP_2) | instskip(SKIP_1) | instid1(SALU_CYCLE_1)
	v_cmp_gt_i32_e64 s0, s21, v13
	s_or_b32 s2, s0, s2
	s_and_not1_b32 exec_lo, exec_lo, s2
	s_cbranch_execnz .LBB43_8
; %bb.9:                                ;   in Loop: Header=BB43_6 Depth=1
	s_or_b32 exec_lo, exec_lo, s2
.LBB43_10:                              ;   in Loop: Header=BB43_6 Depth=1
	s_delay_alu instid0(SALU_CYCLE_1) | instskip(SKIP_1) | instid1(VALU_DEP_1)
	s_or_b32 exec_lo, exec_lo, s1
	v_mad_u32 v2, v13, s7, s10
	v_cmp_lt_i32_e64 s0, -1, v2
	v_cmp_gt_i32_e64 s1, s17, v2
	s_and_b32 s0, s0, s1
	s_delay_alu instid0(SALU_CYCLE_1)
	s_and_saveexec_b32 s24, s0
	s_cbranch_execz .LBB43_5
; %bb.11:                               ;   in Loop: Header=BB43_6 Depth=1
	s_and_saveexec_b32 s25, vcc_lo
	s_cbranch_execz .LBB43_4
; %bb.12:                               ;   in Loop: Header=BB43_6 Depth=1
	v_mul_lo_u32 v6, s12, v11
	v_mul_lo_u32 v8, s28, v11
	;; [unrolled: 1-line block ×4, first 2 shown]
	v_dual_mov_b32 v5, v3 :: v_dual_mov_b32 v15, v12
	s_mov_b32 s26, 0
	s_delay_alu instid0(VALU_DEP_4) | instskip(NEXT) | instid1(VALU_DEP_3)
	v_dual_ashrrev_i32 v7, 31, v6 :: v_dual_ashrrev_i32 v9, 31, v8
	v_dual_ashrrev_i32 v17, 31, v16 :: v_dual_ashrrev_i32 v19, 31, v18
	s_delay_alu instid0(VALU_DEP_2) | instskip(NEXT) | instid1(VALU_DEP_3)
	v_lshl_add_u64 v[6:7], v[6:7], 1, s[36:37]
	v_lshl_add_u64 v[8:9], v[8:9], 1, s[38:39]
	s_delay_alu instid0(VALU_DEP_2) | instskip(NEXT) | instid1(VALU_DEP_2)
	v_lshl_add_u64 v[16:17], v[16:17], 1, v[6:7]
	v_lshl_add_u64 v[6:7], v[18:19], 1, v[8:9]
	s_delay_alu instid0(VALU_DEP_2)
	v_add_nc_u64_e32 v[8:9], v[16:17], v[4:5]
	v_mov_b32_e32 v5, v14
	s_branch .LBB43_14
.LBB43_13:                              ;   in Loop: Header=BB43_14 Depth=2
	s_or_b32 exec_lo, exec_lo, s1
	s_wait_loadcnt 0x0
	v_lshlrev_b32_e32 v16, 16, v16
	v_cmp_le_i32_e64 s0, s22, v15
	v_add_nc_u64_e32 v[8:9], 64, v[8:9]
	s_delay_alu instid0(VALU_DEP_3) | instskip(SKIP_1) | instid1(SALU_CYCLE_1)
	v_fmac_f32_e32 v10, v2, v16
	s_or_b32 s26, s0, s26
	s_and_not1_b32 exec_lo, exec_lo, s26
	s_cbranch_execz .LBB43_3
.LBB43_14:                              ;   Parent Loop BB43_6 Depth=1
                                        ; =>  This Loop Header: Depth=2
                                        ;       Child Loop BB43_20 Depth 3
	global_load_u16 v16, v[8:9], off
	v_mad_u32 v17, v5, s9, s13
	v_mov_b32_e32 v2, 0
	s_mov_b32 s27, exec_lo
	s_wait_xcnt 0x0
	s_delay_alu instid0(VALU_DEP_2)
	v_cmpx_lt_i32_e32 -1, v17
	s_cbranch_execz .LBB43_18
; %bb.15:                               ;   in Loop: Header=BB43_14 Depth=2
	v_mad_u32 v18, v15, s8, s11
	v_cmp_gt_i32_e64 s0, s19, v17
	v_mov_b32_e32 v2, 0
	s_delay_alu instid0(VALU_DEP_3) | instskip(SKIP_2) | instid1(SALU_CYCLE_1)
	v_cmp_gt_i32_e64 s1, s18, v18
	v_cmp_lt_i32_e64 s2, -1, v18
	s_and_b32 s0, s0, s1
	s_and_b32 s1, s0, s2
	s_delay_alu instid0(SALU_CYCLE_1)
	s_and_saveexec_b32 s0, s1
	s_cbranch_execz .LBB43_17
; %bb.16:                               ;   in Loop: Header=BB43_14 Depth=2
	v_mad_u32 v2, v18, s19, v17
	s_delay_alu instid0(VALU_DEP_1)
	v_lshl_add_u64 v[18:19], v[2:3], 1, v[6:7]
	global_load_u16 v2, v[18:19], off
	s_wait_loadcnt 0x0
	v_lshlrev_b32_e32 v2, 16, v2
.LBB43_17:                              ;   in Loop: Header=BB43_14 Depth=2
	s_or_b32 exec_lo, exec_lo, s0
.LBB43_18:                              ;   in Loop: Header=BB43_14 Depth=2
	s_delay_alu instid0(SALU_CYCLE_1) | instskip(SKIP_2) | instid1(VALU_DEP_1)
	s_or_b32 exec_lo, exec_lo, s27
	v_add_nc_u32_e32 v5, 32, v5
	s_mov_b32 s1, exec_lo
	v_cmpx_le_i32_e64 s23, v5
	s_cbranch_execz .LBB43_13
; %bb.19:                               ;   in Loop: Header=BB43_14 Depth=2
	s_mov_b32 s2, 0
.LBB43_20:                              ;   Parent Loop BB43_6 Depth=1
                                        ;     Parent Loop BB43_14 Depth=2
                                        ; =>    This Inner Loop Header: Depth=3
	v_subrev_nc_u32_e32 v5, s23, v5
	v_add_nc_u32_e32 v15, 1, v15
	s_delay_alu instid0(VALU_DEP_2) | instskip(SKIP_1) | instid1(SALU_CYCLE_1)
	v_cmp_gt_i32_e64 s0, s23, v5
	s_or_b32 s2, s0, s2
	s_and_not1_b32 exec_lo, exec_lo, s2
	s_cbranch_execnz .LBB43_20
; %bb.21:                               ;   in Loop: Header=BB43_14 Depth=2
	s_or_b32 exec_lo, exec_lo, s2
	s_branch .LBB43_13
.LBB43_22:
	s_or_b32 exec_lo, exec_lo, s43
.LBB43_23:
	s_delay_alu instid0(SALU_CYCLE_1)
	s_or_b32 exec_lo, exec_lo, s42
	s_load_b64 s[0:1], s[34:35], 0x0
	v_bfe_u32 v1, v10, 16, 1
	v_cmp_o_f32_e32 vcc_lo, v10, v10
	s_bcnt1_i32_b32 s3, s40
	s_mov_b32 s2, -1
	s_cmp_lg_u32 s3, 1
	v_add3_u32 v1, v10, v1, 0x7fff
	s_delay_alu instid0(VALU_DEP_1) | instskip(SKIP_1) | instid1(VALU_DEP_2)
	v_lshrrev_b32_e32 v2, 16, v1
	v_lshl_add_u32 v1, v0, 1, 0
	v_cndmask_b32_e32 v2, 0x7fc0, v2, vcc_lo
	ds_store_b16 v1, v2
	s_wait_dscnt 0x0
	s_barrier_signal -1
	s_barrier_wait -1
	s_cbranch_scc1 .LBB43_32
; %bb.24:
	s_and_not1_b32 vcc_lo, exec_lo, s2
	s_cbranch_vccnz .LBB43_28
.LBB43_25:
	s_cmp_lt_u32 s40, 2
	s_cbranch_scc0 .LBB43_30
.LBB43_26:
	s_mov_b32 s2, exec_lo
	v_cmpx_eq_u32_e32 0, v0
	s_cbranch_execz .LBB43_28
; %bb.27:
	s_mul_i32 s8, s4, s33
	s_mul_i32 s4, s6, s16
	s_delay_alu instid0(SALU_CYCLE_1)
	v_dual_mov_b32 v0, 0 :: v_dual_mov_b32 v1, s4
	s_mul_i32 s2, s15, s31
	s_ashr_i32 s9, s8, 31
	s_ashr_i32 s3, s2, 31
	ds_load_u16 v0, v0
	s_lshl_b64 s[2:3], s[2:3], 1
	s_wait_kmcnt 0x0
	s_add_nc_u64 s[0:1], s[0:1], s[2:3]
	s_lshl_b64 s[2:3], s[8:9], 1
	s_delay_alu instid0(SALU_CYCLE_1) | instskip(SKIP_1) | instid1(SALU_CYCLE_1)
	s_add_nc_u64 s[0:1], s[0:1], s[2:3]
	s_mul_i32 s2, s5, s20
	s_ashr_i32 s3, s2, 31
	s_delay_alu instid0(SALU_CYCLE_1) | instskip(NEXT) | instid1(SALU_CYCLE_1)
	s_lshl_b64 s[2:3], s[2:3], 1
	s_add_nc_u64 s[0:1], s[0:1], s[2:3]
	s_wait_dscnt 0x0
	global_store_b16 v1, v0, s[0:1] scale_offset
.LBB43_28:
	s_endpgm
.LBB43_29:                              ;   in Loop: Header=BB43_30 Depth=1
	s_or_b32 exec_lo, exec_lo, s3
	s_cmp_lt_u32 s40, 4
	s_mov_b32 s40, s2
	s_wait_dscnt 0x0
	s_barrier_signal -1
	s_barrier_wait -1
	s_cbranch_scc1 .LBB43_26
.LBB43_30:                              ; =>This Inner Loop Header: Depth=1
	s_lshr_b32 s2, s40, 1
	s_mov_b32 s3, exec_lo
	v_cmpx_gt_u32_e64 s2, v0
	s_cbranch_execz .LBB43_29
; %bb.31:                               ;   in Loop: Header=BB43_30 Depth=1
	v_lshl_add_u32 v2, s2, 1, v1
	ds_load_u16 v2, v2
	ds_load_u16 v3, v1
	s_wait_dscnt 0x0
	v_dual_lshlrev_b32 v2, 16, v2 :: v_dual_lshlrev_b32 v3, 16, v3
	s_delay_alu instid0(VALU_DEP_1) | instskip(NEXT) | instid1(VALU_DEP_1)
	v_add_f32_e32 v2, v3, v2
	v_bfe_u32 v3, v2, 16, 1
	s_delay_alu instid0(VALU_DEP_1) | instskip(NEXT) | instid1(VALU_DEP_1)
	v_add3_u32 v3, v2, v3, 0x7fff
	v_lshrrev_b32_e32 v3, 16, v3
	v_cmp_o_f32_e32 vcc_lo, v2, v2
	s_delay_alu instid0(VALU_DEP_2)
	v_cndmask_b32_e32 v2, 0x7fc0, v3, vcc_lo
	ds_store_b16 v1, v2
	s_branch .LBB43_29
.LBB43_32:
	s_trap 2
	; divergent unreachable
	s_cbranch_execz .LBB43_25
	s_branch .LBB43_28
	.section	.rodata,"a",@progbits
	.p2align	6, 0x0
	.amdhsa_kernel _ZN2at6native12_GLOBAL__N_144conv_depthwise3d_cuda_backward_weight_kernelIN3c108BFloat16EfLin1ELin1EEEvN5torch10headeronly6detail27GenericPackedTensorAccessorINS7_14TensorAccessorINS3_8ArrayRefIlEEKT_Lm4ENS6_16DefaultPtrTraitsEiEENS_6detail16IndexBoundsCheckILm5EiEESD_Lm5ESE_iEESJ_NS8_INS9_ISB_SC_Lm4ESE_iEESI_SC_Lm5ESE_iEEiiiiiiiii
		.amdhsa_group_segment_fixed_size 0
		.amdhsa_private_segment_fixed_size 0
		.amdhsa_kernarg_size 440
		.amdhsa_user_sgpr_count 2
		.amdhsa_user_sgpr_dispatch_ptr 0
		.amdhsa_user_sgpr_queue_ptr 0
		.amdhsa_user_sgpr_kernarg_segment_ptr 1
		.amdhsa_user_sgpr_dispatch_id 0
		.amdhsa_user_sgpr_kernarg_preload_length 0
		.amdhsa_user_sgpr_kernarg_preload_offset 0
		.amdhsa_user_sgpr_private_segment_size 0
		.amdhsa_wavefront_size32 1
		.amdhsa_uses_dynamic_stack 0
		.amdhsa_enable_private_segment 0
		.amdhsa_system_sgpr_workgroup_id_x 1
		.amdhsa_system_sgpr_workgroup_id_y 0
		.amdhsa_system_sgpr_workgroup_id_z 0
		.amdhsa_system_sgpr_workgroup_info 0
		.amdhsa_system_vgpr_workitem_id 0
		.amdhsa_next_free_vgpr 20
		.amdhsa_next_free_sgpr 48
		.amdhsa_named_barrier_count 0
		.amdhsa_reserve_vcc 1
		.amdhsa_float_round_mode_32 0
		.amdhsa_float_round_mode_16_64 0
		.amdhsa_float_denorm_mode_32 3
		.amdhsa_float_denorm_mode_16_64 3
		.amdhsa_fp16_overflow 0
		.amdhsa_memory_ordered 1
		.amdhsa_forward_progress 1
		.amdhsa_inst_pref_size 18
		.amdhsa_round_robin_scheduling 0
		.amdhsa_exception_fp_ieee_invalid_op 0
		.amdhsa_exception_fp_denorm_src 0
		.amdhsa_exception_fp_ieee_div_zero 0
		.amdhsa_exception_fp_ieee_overflow 0
		.amdhsa_exception_fp_ieee_underflow 0
		.amdhsa_exception_fp_ieee_inexact 0
		.amdhsa_exception_int_div_zero 0
	.end_amdhsa_kernel
	.section	.text._ZN2at6native12_GLOBAL__N_144conv_depthwise3d_cuda_backward_weight_kernelIN3c108BFloat16EfLin1ELin1EEEvN5torch10headeronly6detail27GenericPackedTensorAccessorINS7_14TensorAccessorINS3_8ArrayRefIlEEKT_Lm4ENS6_16DefaultPtrTraitsEiEENS_6detail16IndexBoundsCheckILm5EiEESD_Lm5ESE_iEESJ_NS8_INS9_ISB_SC_Lm4ESE_iEESI_SC_Lm5ESE_iEEiiiiiiiii,"axG",@progbits,_ZN2at6native12_GLOBAL__N_144conv_depthwise3d_cuda_backward_weight_kernelIN3c108BFloat16EfLin1ELin1EEEvN5torch10headeronly6detail27GenericPackedTensorAccessorINS7_14TensorAccessorINS3_8ArrayRefIlEEKT_Lm4ENS6_16DefaultPtrTraitsEiEENS_6detail16IndexBoundsCheckILm5EiEESD_Lm5ESE_iEESJ_NS8_INS9_ISB_SC_Lm4ESE_iEESI_SC_Lm5ESE_iEEiiiiiiiii,comdat
.Lfunc_end43:
	.size	_ZN2at6native12_GLOBAL__N_144conv_depthwise3d_cuda_backward_weight_kernelIN3c108BFloat16EfLin1ELin1EEEvN5torch10headeronly6detail27GenericPackedTensorAccessorINS7_14TensorAccessorINS3_8ArrayRefIlEEKT_Lm4ENS6_16DefaultPtrTraitsEiEENS_6detail16IndexBoundsCheckILm5EiEESD_Lm5ESE_iEESJ_NS8_INS9_ISB_SC_Lm4ESE_iEESI_SC_Lm5ESE_iEEiiiiiiiii, .Lfunc_end43-_ZN2at6native12_GLOBAL__N_144conv_depthwise3d_cuda_backward_weight_kernelIN3c108BFloat16EfLin1ELin1EEEvN5torch10headeronly6detail27GenericPackedTensorAccessorINS7_14TensorAccessorINS3_8ArrayRefIlEEKT_Lm4ENS6_16DefaultPtrTraitsEiEENS_6detail16IndexBoundsCheckILm5EiEESD_Lm5ESE_iEESJ_NS8_INS9_ISB_SC_Lm4ESE_iEESI_SC_Lm5ESE_iEEiiiiiiiii
                                        ; -- End function
	.set _ZN2at6native12_GLOBAL__N_144conv_depthwise3d_cuda_backward_weight_kernelIN3c108BFloat16EfLin1ELin1EEEvN5torch10headeronly6detail27GenericPackedTensorAccessorINS7_14TensorAccessorINS3_8ArrayRefIlEEKT_Lm4ENS6_16DefaultPtrTraitsEiEENS_6detail16IndexBoundsCheckILm5EiEESD_Lm5ESE_iEESJ_NS8_INS9_ISB_SC_Lm4ESE_iEESI_SC_Lm5ESE_iEEiiiiiiiii.num_vgpr, 20
	.set _ZN2at6native12_GLOBAL__N_144conv_depthwise3d_cuda_backward_weight_kernelIN3c108BFloat16EfLin1ELin1EEEvN5torch10headeronly6detail27GenericPackedTensorAccessorINS7_14TensorAccessorINS3_8ArrayRefIlEEKT_Lm4ENS6_16DefaultPtrTraitsEiEENS_6detail16IndexBoundsCheckILm5EiEESD_Lm5ESE_iEESJ_NS8_INS9_ISB_SC_Lm4ESE_iEESI_SC_Lm5ESE_iEEiiiiiiiii.num_agpr, 0
	.set _ZN2at6native12_GLOBAL__N_144conv_depthwise3d_cuda_backward_weight_kernelIN3c108BFloat16EfLin1ELin1EEEvN5torch10headeronly6detail27GenericPackedTensorAccessorINS7_14TensorAccessorINS3_8ArrayRefIlEEKT_Lm4ENS6_16DefaultPtrTraitsEiEENS_6detail16IndexBoundsCheckILm5EiEESD_Lm5ESE_iEESJ_NS8_INS9_ISB_SC_Lm4ESE_iEESI_SC_Lm5ESE_iEEiiiiiiiii.numbered_sgpr, 48
	.set _ZN2at6native12_GLOBAL__N_144conv_depthwise3d_cuda_backward_weight_kernelIN3c108BFloat16EfLin1ELin1EEEvN5torch10headeronly6detail27GenericPackedTensorAccessorINS7_14TensorAccessorINS3_8ArrayRefIlEEKT_Lm4ENS6_16DefaultPtrTraitsEiEENS_6detail16IndexBoundsCheckILm5EiEESD_Lm5ESE_iEESJ_NS8_INS9_ISB_SC_Lm4ESE_iEESI_SC_Lm5ESE_iEEiiiiiiiii.num_named_barrier, 0
	.set _ZN2at6native12_GLOBAL__N_144conv_depthwise3d_cuda_backward_weight_kernelIN3c108BFloat16EfLin1ELin1EEEvN5torch10headeronly6detail27GenericPackedTensorAccessorINS7_14TensorAccessorINS3_8ArrayRefIlEEKT_Lm4ENS6_16DefaultPtrTraitsEiEENS_6detail16IndexBoundsCheckILm5EiEESD_Lm5ESE_iEESJ_NS8_INS9_ISB_SC_Lm4ESE_iEESI_SC_Lm5ESE_iEEiiiiiiiii.private_seg_size, 0
	.set _ZN2at6native12_GLOBAL__N_144conv_depthwise3d_cuda_backward_weight_kernelIN3c108BFloat16EfLin1ELin1EEEvN5torch10headeronly6detail27GenericPackedTensorAccessorINS7_14TensorAccessorINS3_8ArrayRefIlEEKT_Lm4ENS6_16DefaultPtrTraitsEiEENS_6detail16IndexBoundsCheckILm5EiEESD_Lm5ESE_iEESJ_NS8_INS9_ISB_SC_Lm4ESE_iEESI_SC_Lm5ESE_iEEiiiiiiiii.uses_vcc, 1
	.set _ZN2at6native12_GLOBAL__N_144conv_depthwise3d_cuda_backward_weight_kernelIN3c108BFloat16EfLin1ELin1EEEvN5torch10headeronly6detail27GenericPackedTensorAccessorINS7_14TensorAccessorINS3_8ArrayRefIlEEKT_Lm4ENS6_16DefaultPtrTraitsEiEENS_6detail16IndexBoundsCheckILm5EiEESD_Lm5ESE_iEESJ_NS8_INS9_ISB_SC_Lm4ESE_iEESI_SC_Lm5ESE_iEEiiiiiiiii.uses_flat_scratch, 0
	.set _ZN2at6native12_GLOBAL__N_144conv_depthwise3d_cuda_backward_weight_kernelIN3c108BFloat16EfLin1ELin1EEEvN5torch10headeronly6detail27GenericPackedTensorAccessorINS7_14TensorAccessorINS3_8ArrayRefIlEEKT_Lm4ENS6_16DefaultPtrTraitsEiEENS_6detail16IndexBoundsCheckILm5EiEESD_Lm5ESE_iEESJ_NS8_INS9_ISB_SC_Lm4ESE_iEESI_SC_Lm5ESE_iEEiiiiiiiii.has_dyn_sized_stack, 0
	.set _ZN2at6native12_GLOBAL__N_144conv_depthwise3d_cuda_backward_weight_kernelIN3c108BFloat16EfLin1ELin1EEEvN5torch10headeronly6detail27GenericPackedTensorAccessorINS7_14TensorAccessorINS3_8ArrayRefIlEEKT_Lm4ENS6_16DefaultPtrTraitsEiEENS_6detail16IndexBoundsCheckILm5EiEESD_Lm5ESE_iEESJ_NS8_INS9_ISB_SC_Lm4ESE_iEESI_SC_Lm5ESE_iEEiiiiiiiii.has_recursion, 0
	.set _ZN2at6native12_GLOBAL__N_144conv_depthwise3d_cuda_backward_weight_kernelIN3c108BFloat16EfLin1ELin1EEEvN5torch10headeronly6detail27GenericPackedTensorAccessorINS7_14TensorAccessorINS3_8ArrayRefIlEEKT_Lm4ENS6_16DefaultPtrTraitsEiEENS_6detail16IndexBoundsCheckILm5EiEESD_Lm5ESE_iEESJ_NS8_INS9_ISB_SC_Lm4ESE_iEESI_SC_Lm5ESE_iEEiiiiiiiii.has_indirect_call, 0
	.section	.AMDGPU.csdata,"",@progbits
; Kernel info:
; codeLenInByte = 2184
; TotalNumSgprs: 50
; NumVgprs: 20
; ScratchSize: 0
; MemoryBound: 0
; FloatMode: 240
; IeeeMode: 1
; LDSByteSize: 0 bytes/workgroup (compile time only)
; SGPRBlocks: 0
; VGPRBlocks: 1
; NumSGPRsForWavesPerEU: 50
; NumVGPRsForWavesPerEU: 20
; NamedBarCnt: 0
; Occupancy: 16
; WaveLimiterHint : 1
; COMPUTE_PGM_RSRC2:SCRATCH_EN: 0
; COMPUTE_PGM_RSRC2:USER_SGPR: 2
; COMPUTE_PGM_RSRC2:TRAP_HANDLER: 0
; COMPUTE_PGM_RSRC2:TGID_X_EN: 1
; COMPUTE_PGM_RSRC2:TGID_Y_EN: 0
; COMPUTE_PGM_RSRC2:TGID_Z_EN: 0
; COMPUTE_PGM_RSRC2:TIDIG_COMP_CNT: 0
	.section	.AMDGPU.gpr_maximums,"",@progbits
	.set amdgpu.max_num_vgpr, 0
	.set amdgpu.max_num_agpr, 0
	.set amdgpu.max_num_sgpr, 0
	.section	.AMDGPU.csdata,"",@progbits
	.type	__hip_cuid_6263920e03b37608,@object ; @__hip_cuid_6263920e03b37608
	.section	.bss,"aw",@nobits
	.globl	__hip_cuid_6263920e03b37608
__hip_cuid_6263920e03b37608:
	.byte	0                               ; 0x0
	.size	__hip_cuid_6263920e03b37608, 1

	.ident	"AMD clang version 22.0.0git (https://github.com/RadeonOpenCompute/llvm-project roc-7.2.4 26084 f58b06dce1f9c15707c5f808fd002e18c2accf7e)"
	.section	".note.GNU-stack","",@progbits
	.addrsig
	.addrsig_sym __hip_cuid_6263920e03b37608
	.amdgpu_metadata
---
amdhsa.kernels:
  - .args:
      - .offset:         0
        .size:           48
        .value_kind:     by_value
      - .offset:         48
        .size:           48
        .value_kind:     by_value
      - .offset:         96
        .size:           48
        .value_kind:     by_value
      - .address_space:  global
        .offset:         144
        .size:           8
        .value_kind:     global_buffer
      - .offset:         152
        .size:           4
        .value_kind:     by_value
      - .offset:         156
        .size:           4
        .value_kind:     by_value
      - .offset:         160
        .size:           4
        .value_kind:     by_value
      - .offset:         164
        .size:           4
        .value_kind:     by_value
      - .offset:         168
        .size:           4
        .value_kind:     by_value
      - .offset:         172
        .size:           4
        .value_kind:     by_value
      - .offset:         176
        .size:           4
        .value_kind:     by_value
      - .offset:         180
        .size:           4
        .value_kind:     by_value
      - .offset:         184
        .size:           4
        .value_kind:     by_value
      - .offset:         192
        .size:           4
        .value_kind:     hidden_block_count_x
      - .offset:         196
        .size:           4
        .value_kind:     hidden_block_count_y
      - .offset:         200
        .size:           4
        .value_kind:     hidden_block_count_z
      - .offset:         204
        .size:           2
        .value_kind:     hidden_group_size_x
      - .offset:         206
        .size:           2
        .value_kind:     hidden_group_size_y
      - .offset:         208
        .size:           2
        .value_kind:     hidden_group_size_z
      - .offset:         210
        .size:           2
        .value_kind:     hidden_remainder_x
      - .offset:         212
        .size:           2
        .value_kind:     hidden_remainder_y
      - .offset:         214
        .size:           2
        .value_kind:     hidden_remainder_z
      - .offset:         232
        .size:           8
        .value_kind:     hidden_global_offset_x
      - .offset:         240
        .size:           8
        .value_kind:     hidden_global_offset_y
      - .offset:         248
        .size:           8
        .value_kind:     hidden_global_offset_z
      - .offset:         256
        .size:           2
        .value_kind:     hidden_grid_dims
    .group_segment_fixed_size: 0
    .kernarg_segment_align: 8
    .kernarg_segment_size: 448
    .language:       OpenCL C
    .language_version:
      - 2
      - 0
    .max_flat_workgroup_size: 1024
    .name:           _ZN2at6native12_GLOBAL__N_128conv_depthwise3d_cuda_kernelIddLi3ELi3ELi3ELi1ELi1ELi1EEEvN5torch10headeronly6detail27GenericPackedTensorAccessorINS5_14TensorAccessorIN3c108ArrayRefIlEEKT_Lm4ENS4_16DefaultPtrTraitsEiEENS_6detail16IndexBoundsCheckILm5EiEESC_Lm5ESD_iEENS6_INS7_ISA_SB_Lm4ESD_iEESH_SB_Lm5ESD_iEESI_PSC_iiiiiiiii
    .private_segment_fixed_size: 0
    .sgpr_count:     84
    .sgpr_spill_count: 0
    .symbol:         _ZN2at6native12_GLOBAL__N_128conv_depthwise3d_cuda_kernelIddLi3ELi3ELi3ELi1ELi1ELi1EEEvN5torch10headeronly6detail27GenericPackedTensorAccessorINS5_14TensorAccessorIN3c108ArrayRefIlEEKT_Lm4ENS4_16DefaultPtrTraitsEiEENS_6detail16IndexBoundsCheckILm5EiEESC_Lm5ESD_iEENS6_INS7_ISA_SB_Lm4ESD_iEESH_SB_Lm5ESD_iEESI_PSC_iiiiiiiii.kd
    .uniform_work_group_size: 1
    .uses_dynamic_stack: false
    .vgpr_count:     26
    .vgpr_spill_count: 0
    .wavefront_size: 32
  - .args:
      - .offset:         0
        .size:           48
        .value_kind:     by_value
      - .offset:         48
        .size:           48
        .value_kind:     by_value
      - .offset:         96
        .size:           48
        .value_kind:     by_value
      - .address_space:  global
        .offset:         144
        .size:           8
        .value_kind:     global_buffer
      - .offset:         152
        .size:           4
        .value_kind:     by_value
      - .offset:         156
        .size:           4
        .value_kind:     by_value
      - .offset:         160
        .size:           4
        .value_kind:     by_value
      - .offset:         164
        .size:           4
        .value_kind:     by_value
      - .offset:         168
        .size:           4
        .value_kind:     by_value
      - .offset:         172
        .size:           4
        .value_kind:     by_value
      - .offset:         176
        .size:           4
        .value_kind:     by_value
      - .offset:         180
        .size:           4
        .value_kind:     by_value
      - .offset:         184
        .size:           4
        .value_kind:     by_value
      - .offset:         192
        .size:           4
        .value_kind:     hidden_block_count_x
      - .offset:         196
        .size:           4
        .value_kind:     hidden_block_count_y
      - .offset:         200
        .size:           4
        .value_kind:     hidden_block_count_z
      - .offset:         204
        .size:           2
        .value_kind:     hidden_group_size_x
      - .offset:         206
        .size:           2
        .value_kind:     hidden_group_size_y
      - .offset:         208
        .size:           2
        .value_kind:     hidden_group_size_z
      - .offset:         210
        .size:           2
        .value_kind:     hidden_remainder_x
      - .offset:         212
        .size:           2
        .value_kind:     hidden_remainder_y
      - .offset:         214
        .size:           2
        .value_kind:     hidden_remainder_z
      - .offset:         232
        .size:           8
        .value_kind:     hidden_global_offset_x
      - .offset:         240
        .size:           8
        .value_kind:     hidden_global_offset_y
      - .offset:         248
        .size:           8
        .value_kind:     hidden_global_offset_z
      - .offset:         256
        .size:           2
        .value_kind:     hidden_grid_dims
    .group_segment_fixed_size: 0
    .kernarg_segment_align: 8
    .kernarg_segment_size: 448
    .language:       OpenCL C
    .language_version:
      - 2
      - 0
    .max_flat_workgroup_size: 1024
    .name:           _ZN2at6native12_GLOBAL__N_128conv_depthwise3d_cuda_kernelIddLin1ELin1ELin1ELi1ELi1ELi1EEEvN5torch10headeronly6detail27GenericPackedTensorAccessorINS5_14TensorAccessorIN3c108ArrayRefIlEEKT_Lm4ENS4_16DefaultPtrTraitsEiEENS_6detail16IndexBoundsCheckILm5EiEESC_Lm5ESD_iEENS6_INS7_ISA_SB_Lm4ESD_iEESH_SB_Lm5ESD_iEESI_PSC_iiiiiiiii
    .private_segment_fixed_size: 0
    .sgpr_count:     79
    .sgpr_spill_count: 0
    .symbol:         _ZN2at6native12_GLOBAL__N_128conv_depthwise3d_cuda_kernelIddLin1ELin1ELin1ELi1ELi1ELi1EEEvN5torch10headeronly6detail27GenericPackedTensorAccessorINS5_14TensorAccessorIN3c108ArrayRefIlEEKT_Lm4ENS4_16DefaultPtrTraitsEiEENS_6detail16IndexBoundsCheckILm5EiEESC_Lm5ESD_iEENS6_INS7_ISA_SB_Lm4ESD_iEESH_SB_Lm5ESD_iEESI_PSC_iiiiiiiii.kd
    .uniform_work_group_size: 1
    .uses_dynamic_stack: false
    .vgpr_count:     24
    .vgpr_spill_count: 0
    .wavefront_size: 32
  - .args:
      - .offset:         0
        .size:           48
        .value_kind:     by_value
      - .offset:         48
        .size:           48
        .value_kind:     by_value
      - .offset:         96
        .size:           48
        .value_kind:     by_value
      - .address_space:  global
        .offset:         144
        .size:           8
        .value_kind:     global_buffer
      - .offset:         152
        .size:           4
        .value_kind:     by_value
      - .offset:         156
        .size:           4
        .value_kind:     by_value
      - .offset:         160
        .size:           4
        .value_kind:     by_value
      - .offset:         164
        .size:           4
        .value_kind:     by_value
      - .offset:         168
        .size:           4
        .value_kind:     by_value
      - .offset:         172
        .size:           4
        .value_kind:     by_value
      - .offset:         176
        .size:           4
        .value_kind:     by_value
      - .offset:         180
        .size:           4
        .value_kind:     by_value
      - .offset:         184
        .size:           4
        .value_kind:     by_value
      - .offset:         192
        .size:           4
        .value_kind:     hidden_block_count_x
      - .offset:         196
        .size:           4
        .value_kind:     hidden_block_count_y
      - .offset:         200
        .size:           4
        .value_kind:     hidden_block_count_z
      - .offset:         204
        .size:           2
        .value_kind:     hidden_group_size_x
      - .offset:         206
        .size:           2
        .value_kind:     hidden_group_size_y
      - .offset:         208
        .size:           2
        .value_kind:     hidden_group_size_z
      - .offset:         210
        .size:           2
        .value_kind:     hidden_remainder_x
      - .offset:         212
        .size:           2
        .value_kind:     hidden_remainder_y
      - .offset:         214
        .size:           2
        .value_kind:     hidden_remainder_z
      - .offset:         232
        .size:           8
        .value_kind:     hidden_global_offset_x
      - .offset:         240
        .size:           8
        .value_kind:     hidden_global_offset_y
      - .offset:         248
        .size:           8
        .value_kind:     hidden_global_offset_z
      - .offset:         256
        .size:           2
        .value_kind:     hidden_grid_dims
    .group_segment_fixed_size: 0
    .kernarg_segment_align: 8
    .kernarg_segment_size: 448
    .language:       OpenCL C
    .language_version:
      - 2
      - 0
    .max_flat_workgroup_size: 1024
    .name:           _ZN2at6native12_GLOBAL__N_128conv_depthwise3d_cuda_kernelIddLin1ELin1ELin1ELin1ELin1ELin1EEEvN5torch10headeronly6detail27GenericPackedTensorAccessorINS5_14TensorAccessorIN3c108ArrayRefIlEEKT_Lm4ENS4_16DefaultPtrTraitsEiEENS_6detail16IndexBoundsCheckILm5EiEESC_Lm5ESD_iEENS6_INS7_ISA_SB_Lm4ESD_iEESH_SB_Lm5ESD_iEESI_PSC_iiiiiiiii
    .private_segment_fixed_size: 0
    .sgpr_count:     84
    .sgpr_spill_count: 0
    .symbol:         _ZN2at6native12_GLOBAL__N_128conv_depthwise3d_cuda_kernelIddLin1ELin1ELin1ELin1ELin1ELin1EEEvN5torch10headeronly6detail27GenericPackedTensorAccessorINS5_14TensorAccessorIN3c108ArrayRefIlEEKT_Lm4ENS4_16DefaultPtrTraitsEiEENS_6detail16IndexBoundsCheckILm5EiEESC_Lm5ESD_iEENS6_INS7_ISA_SB_Lm4ESD_iEESH_SB_Lm5ESD_iEESI_PSC_iiiiiiiii.kd
    .uniform_work_group_size: 1
    .uses_dynamic_stack: false
    .vgpr_count:     24
    .vgpr_spill_count: 0
    .wavefront_size: 32
  - .args:
      - .offset:         0
        .size:           48
        .value_kind:     by_value
      - .offset:         48
        .size:           48
        .value_kind:     by_value
      - .offset:         96
        .size:           48
        .value_kind:     by_value
      - .address_space:  global
        .offset:         144
        .size:           8
        .value_kind:     global_buffer
      - .offset:         152
        .size:           4
        .value_kind:     by_value
      - .offset:         156
        .size:           4
        .value_kind:     by_value
      - .offset:         160
        .size:           4
        .value_kind:     by_value
      - .offset:         164
        .size:           4
        .value_kind:     by_value
      - .offset:         168
        .size:           4
        .value_kind:     by_value
      - .offset:         172
        .size:           4
        .value_kind:     by_value
      - .offset:         176
        .size:           4
        .value_kind:     by_value
      - .offset:         180
        .size:           4
        .value_kind:     by_value
      - .offset:         184
        .size:           4
        .value_kind:     by_value
      - .offset:         192
        .size:           4
        .value_kind:     hidden_block_count_x
      - .offset:         196
        .size:           4
        .value_kind:     hidden_block_count_y
      - .offset:         200
        .size:           4
        .value_kind:     hidden_block_count_z
      - .offset:         204
        .size:           2
        .value_kind:     hidden_group_size_x
      - .offset:         206
        .size:           2
        .value_kind:     hidden_group_size_y
      - .offset:         208
        .size:           2
        .value_kind:     hidden_group_size_z
      - .offset:         210
        .size:           2
        .value_kind:     hidden_remainder_x
      - .offset:         212
        .size:           2
        .value_kind:     hidden_remainder_y
      - .offset:         214
        .size:           2
        .value_kind:     hidden_remainder_z
      - .offset:         232
        .size:           8
        .value_kind:     hidden_global_offset_x
      - .offset:         240
        .size:           8
        .value_kind:     hidden_global_offset_y
      - .offset:         248
        .size:           8
        .value_kind:     hidden_global_offset_z
      - .offset:         256
        .size:           2
        .value_kind:     hidden_grid_dims
    .group_segment_fixed_size: 0
    .kernarg_segment_align: 8
    .kernarg_segment_size: 448
    .language:       OpenCL C
    .language_version:
      - 2
      - 0
    .max_flat_workgroup_size: 1024
    .name:           _ZN2at6native12_GLOBAL__N_128conv_depthwise3d_cuda_kernelIffLi3ELi3ELi3ELi1ELi1ELi1EEEvN5torch10headeronly6detail27GenericPackedTensorAccessorINS5_14TensorAccessorIN3c108ArrayRefIlEEKT_Lm4ENS4_16DefaultPtrTraitsEiEENS_6detail16IndexBoundsCheckILm5EiEESC_Lm5ESD_iEENS6_INS7_ISA_SB_Lm4ESD_iEESH_SB_Lm5ESD_iEESI_PSC_iiiiiiiii
    .private_segment_fixed_size: 0
    .sgpr_count:     84
    .sgpr_spill_count: 0
    .symbol:         _ZN2at6native12_GLOBAL__N_128conv_depthwise3d_cuda_kernelIffLi3ELi3ELi3ELi1ELi1ELi1EEEvN5torch10headeronly6detail27GenericPackedTensorAccessorINS5_14TensorAccessorIN3c108ArrayRefIlEEKT_Lm4ENS4_16DefaultPtrTraitsEiEENS_6detail16IndexBoundsCheckILm5EiEESC_Lm5ESD_iEENS6_INS7_ISA_SB_Lm4ESD_iEESH_SB_Lm5ESD_iEESI_PSC_iiiiiiiii.kd
    .uniform_work_group_size: 1
    .uses_dynamic_stack: false
    .vgpr_count:     24
    .vgpr_spill_count: 0
    .wavefront_size: 32
  - .args:
      - .offset:         0
        .size:           48
        .value_kind:     by_value
      - .offset:         48
        .size:           48
        .value_kind:     by_value
      - .offset:         96
        .size:           48
        .value_kind:     by_value
      - .address_space:  global
        .offset:         144
        .size:           8
        .value_kind:     global_buffer
      - .offset:         152
        .size:           4
        .value_kind:     by_value
      - .offset:         156
        .size:           4
        .value_kind:     by_value
      - .offset:         160
        .size:           4
        .value_kind:     by_value
      - .offset:         164
        .size:           4
        .value_kind:     by_value
      - .offset:         168
        .size:           4
        .value_kind:     by_value
      - .offset:         172
        .size:           4
        .value_kind:     by_value
      - .offset:         176
        .size:           4
        .value_kind:     by_value
      - .offset:         180
        .size:           4
        .value_kind:     by_value
      - .offset:         184
        .size:           4
        .value_kind:     by_value
      - .offset:         192
        .size:           4
        .value_kind:     hidden_block_count_x
      - .offset:         196
        .size:           4
        .value_kind:     hidden_block_count_y
      - .offset:         200
        .size:           4
        .value_kind:     hidden_block_count_z
      - .offset:         204
        .size:           2
        .value_kind:     hidden_group_size_x
      - .offset:         206
        .size:           2
        .value_kind:     hidden_group_size_y
      - .offset:         208
        .size:           2
        .value_kind:     hidden_group_size_z
      - .offset:         210
        .size:           2
        .value_kind:     hidden_remainder_x
      - .offset:         212
        .size:           2
        .value_kind:     hidden_remainder_y
      - .offset:         214
        .size:           2
        .value_kind:     hidden_remainder_z
      - .offset:         232
        .size:           8
        .value_kind:     hidden_global_offset_x
      - .offset:         240
        .size:           8
        .value_kind:     hidden_global_offset_y
      - .offset:         248
        .size:           8
        .value_kind:     hidden_global_offset_z
      - .offset:         256
        .size:           2
        .value_kind:     hidden_grid_dims
    .group_segment_fixed_size: 0
    .kernarg_segment_align: 8
    .kernarg_segment_size: 448
    .language:       OpenCL C
    .language_version:
      - 2
      - 0
    .max_flat_workgroup_size: 1024
    .name:           _ZN2at6native12_GLOBAL__N_128conv_depthwise3d_cuda_kernelIffLin1ELin1ELin1ELi1ELi1ELi1EEEvN5torch10headeronly6detail27GenericPackedTensorAccessorINS5_14TensorAccessorIN3c108ArrayRefIlEEKT_Lm4ENS4_16DefaultPtrTraitsEiEENS_6detail16IndexBoundsCheckILm5EiEESC_Lm5ESD_iEENS6_INS7_ISA_SB_Lm4ESD_iEESH_SB_Lm5ESD_iEESI_PSC_iiiiiiiii
    .private_segment_fixed_size: 0
    .sgpr_count:     79
    .sgpr_spill_count: 0
    .symbol:         _ZN2at6native12_GLOBAL__N_128conv_depthwise3d_cuda_kernelIffLin1ELin1ELin1ELi1ELi1ELi1EEEvN5torch10headeronly6detail27GenericPackedTensorAccessorINS5_14TensorAccessorIN3c108ArrayRefIlEEKT_Lm4ENS4_16DefaultPtrTraitsEiEENS_6detail16IndexBoundsCheckILm5EiEESC_Lm5ESD_iEENS6_INS7_ISA_SB_Lm4ESD_iEESH_SB_Lm5ESD_iEESI_PSC_iiiiiiiii.kd
    .uniform_work_group_size: 1
    .uses_dynamic_stack: false
    .vgpr_count:     24
    .vgpr_spill_count: 0
    .wavefront_size: 32
  - .args:
      - .offset:         0
        .size:           48
        .value_kind:     by_value
      - .offset:         48
        .size:           48
        .value_kind:     by_value
      - .offset:         96
        .size:           48
        .value_kind:     by_value
      - .address_space:  global
        .offset:         144
        .size:           8
        .value_kind:     global_buffer
      - .offset:         152
        .size:           4
        .value_kind:     by_value
      - .offset:         156
        .size:           4
        .value_kind:     by_value
      - .offset:         160
        .size:           4
        .value_kind:     by_value
      - .offset:         164
        .size:           4
        .value_kind:     by_value
      - .offset:         168
        .size:           4
        .value_kind:     by_value
      - .offset:         172
        .size:           4
        .value_kind:     by_value
      - .offset:         176
        .size:           4
        .value_kind:     by_value
      - .offset:         180
        .size:           4
        .value_kind:     by_value
      - .offset:         184
        .size:           4
        .value_kind:     by_value
      - .offset:         192
        .size:           4
        .value_kind:     hidden_block_count_x
      - .offset:         196
        .size:           4
        .value_kind:     hidden_block_count_y
      - .offset:         200
        .size:           4
        .value_kind:     hidden_block_count_z
      - .offset:         204
        .size:           2
        .value_kind:     hidden_group_size_x
      - .offset:         206
        .size:           2
        .value_kind:     hidden_group_size_y
      - .offset:         208
        .size:           2
        .value_kind:     hidden_group_size_z
      - .offset:         210
        .size:           2
        .value_kind:     hidden_remainder_x
      - .offset:         212
        .size:           2
        .value_kind:     hidden_remainder_y
      - .offset:         214
        .size:           2
        .value_kind:     hidden_remainder_z
      - .offset:         232
        .size:           8
        .value_kind:     hidden_global_offset_x
      - .offset:         240
        .size:           8
        .value_kind:     hidden_global_offset_y
      - .offset:         248
        .size:           8
        .value_kind:     hidden_global_offset_z
      - .offset:         256
        .size:           2
        .value_kind:     hidden_grid_dims
    .group_segment_fixed_size: 0
    .kernarg_segment_align: 8
    .kernarg_segment_size: 448
    .language:       OpenCL C
    .language_version:
      - 2
      - 0
    .max_flat_workgroup_size: 1024
    .name:           _ZN2at6native12_GLOBAL__N_128conv_depthwise3d_cuda_kernelIffLin1ELin1ELin1ELin1ELin1ELin1EEEvN5torch10headeronly6detail27GenericPackedTensorAccessorINS5_14TensorAccessorIN3c108ArrayRefIlEEKT_Lm4ENS4_16DefaultPtrTraitsEiEENS_6detail16IndexBoundsCheckILm5EiEESC_Lm5ESD_iEENS6_INS7_ISA_SB_Lm4ESD_iEESH_SB_Lm5ESD_iEESI_PSC_iiiiiiiii
    .private_segment_fixed_size: 0
    .sgpr_count:     84
    .sgpr_spill_count: 0
    .symbol:         _ZN2at6native12_GLOBAL__N_128conv_depthwise3d_cuda_kernelIffLin1ELin1ELin1ELin1ELin1ELin1EEEvN5torch10headeronly6detail27GenericPackedTensorAccessorINS5_14TensorAccessorIN3c108ArrayRefIlEEKT_Lm4ENS4_16DefaultPtrTraitsEiEENS_6detail16IndexBoundsCheckILm5EiEESC_Lm5ESD_iEENS6_INS7_ISA_SB_Lm4ESD_iEESH_SB_Lm5ESD_iEESI_PSC_iiiiiiiii.kd
    .uniform_work_group_size: 1
    .uses_dynamic_stack: false
    .vgpr_count:     24
    .vgpr_spill_count: 0
    .wavefront_size: 32
  - .args:
      - .offset:         0
        .size:           48
        .value_kind:     by_value
      - .offset:         48
        .size:           48
        .value_kind:     by_value
      - .offset:         96
        .size:           48
        .value_kind:     by_value
      - .address_space:  global
        .offset:         144
        .size:           8
        .value_kind:     global_buffer
      - .offset:         152
        .size:           4
        .value_kind:     by_value
      - .offset:         156
        .size:           4
        .value_kind:     by_value
      - .offset:         160
        .size:           4
        .value_kind:     by_value
      - .offset:         164
        .size:           4
        .value_kind:     by_value
      - .offset:         168
        .size:           4
        .value_kind:     by_value
      - .offset:         172
        .size:           4
        .value_kind:     by_value
      - .offset:         176
        .size:           4
        .value_kind:     by_value
      - .offset:         180
        .size:           4
        .value_kind:     by_value
      - .offset:         184
        .size:           4
        .value_kind:     by_value
      - .offset:         192
        .size:           4
        .value_kind:     hidden_block_count_x
      - .offset:         196
        .size:           4
        .value_kind:     hidden_block_count_y
      - .offset:         200
        .size:           4
        .value_kind:     hidden_block_count_z
      - .offset:         204
        .size:           2
        .value_kind:     hidden_group_size_x
      - .offset:         206
        .size:           2
        .value_kind:     hidden_group_size_y
      - .offset:         208
        .size:           2
        .value_kind:     hidden_group_size_z
      - .offset:         210
        .size:           2
        .value_kind:     hidden_remainder_x
      - .offset:         212
        .size:           2
        .value_kind:     hidden_remainder_y
      - .offset:         214
        .size:           2
        .value_kind:     hidden_remainder_z
      - .offset:         232
        .size:           8
        .value_kind:     hidden_global_offset_x
      - .offset:         240
        .size:           8
        .value_kind:     hidden_global_offset_y
      - .offset:         248
        .size:           8
        .value_kind:     hidden_global_offset_z
      - .offset:         256
        .size:           2
        .value_kind:     hidden_grid_dims
    .group_segment_fixed_size: 0
    .kernarg_segment_align: 8
    .kernarg_segment_size: 448
    .language:       OpenCL C
    .language_version:
      - 2
      - 0
    .max_flat_workgroup_size: 1024
    .name:           _ZN2at6native12_GLOBAL__N_128conv_depthwise3d_cuda_kernelIN3c104HalfEfLi3ELi3ELi3ELi1ELi1ELi1EEEvN5torch10headeronly6detail27GenericPackedTensorAccessorINS7_14TensorAccessorINS3_8ArrayRefIlEEKT_Lm4ENS6_16DefaultPtrTraitsEiEENS_6detail16IndexBoundsCheckILm5EiEESD_Lm5ESE_iEENS8_INS9_ISB_SC_Lm4ESE_iEESI_SC_Lm5ESE_iEESJ_PSD_iiiiiiiii
    .private_segment_fixed_size: 0
    .sgpr_count:     84
    .sgpr_spill_count: 0
    .symbol:         _ZN2at6native12_GLOBAL__N_128conv_depthwise3d_cuda_kernelIN3c104HalfEfLi3ELi3ELi3ELi1ELi1ELi1EEEvN5torch10headeronly6detail27GenericPackedTensorAccessorINS7_14TensorAccessorINS3_8ArrayRefIlEEKT_Lm4ENS6_16DefaultPtrTraitsEiEENS_6detail16IndexBoundsCheckILm5EiEESD_Lm5ESE_iEENS8_INS9_ISB_SC_Lm4ESE_iEESI_SC_Lm5ESE_iEESJ_PSD_iiiiiiiii.kd
    .uniform_work_group_size: 1
    .uses_dynamic_stack: false
    .vgpr_count:     24
    .vgpr_spill_count: 0
    .wavefront_size: 32
  - .args:
      - .offset:         0
        .size:           48
        .value_kind:     by_value
      - .offset:         48
        .size:           48
        .value_kind:     by_value
      - .offset:         96
        .size:           48
        .value_kind:     by_value
      - .address_space:  global
        .offset:         144
        .size:           8
        .value_kind:     global_buffer
      - .offset:         152
        .size:           4
        .value_kind:     by_value
      - .offset:         156
        .size:           4
        .value_kind:     by_value
      - .offset:         160
        .size:           4
        .value_kind:     by_value
      - .offset:         164
        .size:           4
        .value_kind:     by_value
      - .offset:         168
        .size:           4
        .value_kind:     by_value
      - .offset:         172
        .size:           4
        .value_kind:     by_value
      - .offset:         176
        .size:           4
        .value_kind:     by_value
      - .offset:         180
        .size:           4
        .value_kind:     by_value
      - .offset:         184
        .size:           4
        .value_kind:     by_value
      - .offset:         192
        .size:           4
        .value_kind:     hidden_block_count_x
      - .offset:         196
        .size:           4
        .value_kind:     hidden_block_count_y
      - .offset:         200
        .size:           4
        .value_kind:     hidden_block_count_z
      - .offset:         204
        .size:           2
        .value_kind:     hidden_group_size_x
      - .offset:         206
        .size:           2
        .value_kind:     hidden_group_size_y
      - .offset:         208
        .size:           2
        .value_kind:     hidden_group_size_z
      - .offset:         210
        .size:           2
        .value_kind:     hidden_remainder_x
      - .offset:         212
        .size:           2
        .value_kind:     hidden_remainder_y
      - .offset:         214
        .size:           2
        .value_kind:     hidden_remainder_z
      - .offset:         232
        .size:           8
        .value_kind:     hidden_global_offset_x
      - .offset:         240
        .size:           8
        .value_kind:     hidden_global_offset_y
      - .offset:         248
        .size:           8
        .value_kind:     hidden_global_offset_z
      - .offset:         256
        .size:           2
        .value_kind:     hidden_grid_dims
    .group_segment_fixed_size: 0
    .kernarg_segment_align: 8
    .kernarg_segment_size: 448
    .language:       OpenCL C
    .language_version:
      - 2
      - 0
    .max_flat_workgroup_size: 1024
    .name:           _ZN2at6native12_GLOBAL__N_128conv_depthwise3d_cuda_kernelIN3c104HalfEfLin1ELin1ELin1ELi1ELi1ELi1EEEvN5torch10headeronly6detail27GenericPackedTensorAccessorINS7_14TensorAccessorINS3_8ArrayRefIlEEKT_Lm4ENS6_16DefaultPtrTraitsEiEENS_6detail16IndexBoundsCheckILm5EiEESD_Lm5ESE_iEENS8_INS9_ISB_SC_Lm4ESE_iEESI_SC_Lm5ESE_iEESJ_PSD_iiiiiiiii
    .private_segment_fixed_size: 0
    .sgpr_count:     79
    .sgpr_spill_count: 0
    .symbol:         _ZN2at6native12_GLOBAL__N_128conv_depthwise3d_cuda_kernelIN3c104HalfEfLin1ELin1ELin1ELi1ELi1ELi1EEEvN5torch10headeronly6detail27GenericPackedTensorAccessorINS7_14TensorAccessorINS3_8ArrayRefIlEEKT_Lm4ENS6_16DefaultPtrTraitsEiEENS_6detail16IndexBoundsCheckILm5EiEESD_Lm5ESE_iEENS8_INS9_ISB_SC_Lm4ESE_iEESI_SC_Lm5ESE_iEESJ_PSD_iiiiiiiii.kd
    .uniform_work_group_size: 1
    .uses_dynamic_stack: false
    .vgpr_count:     24
    .vgpr_spill_count: 0
    .wavefront_size: 32
  - .args:
      - .offset:         0
        .size:           48
        .value_kind:     by_value
      - .offset:         48
        .size:           48
        .value_kind:     by_value
      - .offset:         96
        .size:           48
        .value_kind:     by_value
      - .address_space:  global
        .offset:         144
        .size:           8
        .value_kind:     global_buffer
      - .offset:         152
        .size:           4
        .value_kind:     by_value
      - .offset:         156
        .size:           4
        .value_kind:     by_value
      - .offset:         160
        .size:           4
        .value_kind:     by_value
      - .offset:         164
        .size:           4
        .value_kind:     by_value
      - .offset:         168
        .size:           4
        .value_kind:     by_value
      - .offset:         172
        .size:           4
        .value_kind:     by_value
      - .offset:         176
        .size:           4
        .value_kind:     by_value
      - .offset:         180
        .size:           4
        .value_kind:     by_value
      - .offset:         184
        .size:           4
        .value_kind:     by_value
      - .offset:         192
        .size:           4
        .value_kind:     hidden_block_count_x
      - .offset:         196
        .size:           4
        .value_kind:     hidden_block_count_y
      - .offset:         200
        .size:           4
        .value_kind:     hidden_block_count_z
      - .offset:         204
        .size:           2
        .value_kind:     hidden_group_size_x
      - .offset:         206
        .size:           2
        .value_kind:     hidden_group_size_y
      - .offset:         208
        .size:           2
        .value_kind:     hidden_group_size_z
      - .offset:         210
        .size:           2
        .value_kind:     hidden_remainder_x
      - .offset:         212
        .size:           2
        .value_kind:     hidden_remainder_y
      - .offset:         214
        .size:           2
        .value_kind:     hidden_remainder_z
      - .offset:         232
        .size:           8
        .value_kind:     hidden_global_offset_x
      - .offset:         240
        .size:           8
        .value_kind:     hidden_global_offset_y
      - .offset:         248
        .size:           8
        .value_kind:     hidden_global_offset_z
      - .offset:         256
        .size:           2
        .value_kind:     hidden_grid_dims
    .group_segment_fixed_size: 0
    .kernarg_segment_align: 8
    .kernarg_segment_size: 448
    .language:       OpenCL C
    .language_version:
      - 2
      - 0
    .max_flat_workgroup_size: 1024
    .name:           _ZN2at6native12_GLOBAL__N_128conv_depthwise3d_cuda_kernelIN3c104HalfEfLin1ELin1ELin1ELin1ELin1ELin1EEEvN5torch10headeronly6detail27GenericPackedTensorAccessorINS7_14TensorAccessorINS3_8ArrayRefIlEEKT_Lm4ENS6_16DefaultPtrTraitsEiEENS_6detail16IndexBoundsCheckILm5EiEESD_Lm5ESE_iEENS8_INS9_ISB_SC_Lm4ESE_iEESI_SC_Lm5ESE_iEESJ_PSD_iiiiiiiii
    .private_segment_fixed_size: 0
    .sgpr_count:     84
    .sgpr_spill_count: 0
    .symbol:         _ZN2at6native12_GLOBAL__N_128conv_depthwise3d_cuda_kernelIN3c104HalfEfLin1ELin1ELin1ELin1ELin1ELin1EEEvN5torch10headeronly6detail27GenericPackedTensorAccessorINS7_14TensorAccessorINS3_8ArrayRefIlEEKT_Lm4ENS6_16DefaultPtrTraitsEiEENS_6detail16IndexBoundsCheckILm5EiEESD_Lm5ESE_iEENS8_INS9_ISB_SC_Lm4ESE_iEESI_SC_Lm5ESE_iEESJ_PSD_iiiiiiiii.kd
    .uniform_work_group_size: 1
    .uses_dynamic_stack: false
    .vgpr_count:     24
    .vgpr_spill_count: 0
    .wavefront_size: 32
  - .args:
      - .offset:         0
        .size:           48
        .value_kind:     by_value
      - .offset:         48
        .size:           48
        .value_kind:     by_value
      - .offset:         96
        .size:           48
        .value_kind:     by_value
      - .address_space:  global
        .offset:         144
        .size:           8
        .value_kind:     global_buffer
      - .offset:         152
        .size:           4
        .value_kind:     by_value
      - .offset:         156
        .size:           4
        .value_kind:     by_value
      - .offset:         160
        .size:           4
        .value_kind:     by_value
      - .offset:         164
        .size:           4
        .value_kind:     by_value
      - .offset:         168
        .size:           4
        .value_kind:     by_value
      - .offset:         172
        .size:           4
        .value_kind:     by_value
      - .offset:         176
        .size:           4
        .value_kind:     by_value
      - .offset:         180
        .size:           4
        .value_kind:     by_value
      - .offset:         184
        .size:           4
        .value_kind:     by_value
      - .offset:         192
        .size:           4
        .value_kind:     hidden_block_count_x
      - .offset:         196
        .size:           4
        .value_kind:     hidden_block_count_y
      - .offset:         200
        .size:           4
        .value_kind:     hidden_block_count_z
      - .offset:         204
        .size:           2
        .value_kind:     hidden_group_size_x
      - .offset:         206
        .size:           2
        .value_kind:     hidden_group_size_y
      - .offset:         208
        .size:           2
        .value_kind:     hidden_group_size_z
      - .offset:         210
        .size:           2
        .value_kind:     hidden_remainder_x
      - .offset:         212
        .size:           2
        .value_kind:     hidden_remainder_y
      - .offset:         214
        .size:           2
        .value_kind:     hidden_remainder_z
      - .offset:         232
        .size:           8
        .value_kind:     hidden_global_offset_x
      - .offset:         240
        .size:           8
        .value_kind:     hidden_global_offset_y
      - .offset:         248
        .size:           8
        .value_kind:     hidden_global_offset_z
      - .offset:         256
        .size:           2
        .value_kind:     hidden_grid_dims
    .group_segment_fixed_size: 0
    .kernarg_segment_align: 8
    .kernarg_segment_size: 448
    .language:       OpenCL C
    .language_version:
      - 2
      - 0
    .max_flat_workgroup_size: 1024
    .name:           _ZN2at6native12_GLOBAL__N_128conv_depthwise3d_cuda_kernelIN3c108BFloat16EfLi3ELi3ELi3ELi1ELi1ELi1EEEvN5torch10headeronly6detail27GenericPackedTensorAccessorINS7_14TensorAccessorINS3_8ArrayRefIlEEKT_Lm4ENS6_16DefaultPtrTraitsEiEENS_6detail16IndexBoundsCheckILm5EiEESD_Lm5ESE_iEENS8_INS9_ISB_SC_Lm4ESE_iEESI_SC_Lm5ESE_iEESJ_PSD_iiiiiiiii
    .private_segment_fixed_size: 0
    .sgpr_count:     84
    .sgpr_spill_count: 0
    .symbol:         _ZN2at6native12_GLOBAL__N_128conv_depthwise3d_cuda_kernelIN3c108BFloat16EfLi3ELi3ELi3ELi1ELi1ELi1EEEvN5torch10headeronly6detail27GenericPackedTensorAccessorINS7_14TensorAccessorINS3_8ArrayRefIlEEKT_Lm4ENS6_16DefaultPtrTraitsEiEENS_6detail16IndexBoundsCheckILm5EiEESD_Lm5ESE_iEENS8_INS9_ISB_SC_Lm4ESE_iEESI_SC_Lm5ESE_iEESJ_PSD_iiiiiiiii.kd
    .uniform_work_group_size: 1
    .uses_dynamic_stack: false
    .vgpr_count:     24
    .vgpr_spill_count: 0
    .wavefront_size: 32
  - .args:
      - .offset:         0
        .size:           48
        .value_kind:     by_value
      - .offset:         48
        .size:           48
        .value_kind:     by_value
      - .offset:         96
        .size:           48
        .value_kind:     by_value
      - .address_space:  global
        .offset:         144
        .size:           8
        .value_kind:     global_buffer
      - .offset:         152
        .size:           4
        .value_kind:     by_value
      - .offset:         156
        .size:           4
        .value_kind:     by_value
      - .offset:         160
        .size:           4
        .value_kind:     by_value
      - .offset:         164
        .size:           4
        .value_kind:     by_value
      - .offset:         168
        .size:           4
        .value_kind:     by_value
      - .offset:         172
        .size:           4
        .value_kind:     by_value
      - .offset:         176
        .size:           4
        .value_kind:     by_value
      - .offset:         180
        .size:           4
        .value_kind:     by_value
      - .offset:         184
        .size:           4
        .value_kind:     by_value
      - .offset:         192
        .size:           4
        .value_kind:     hidden_block_count_x
      - .offset:         196
        .size:           4
        .value_kind:     hidden_block_count_y
      - .offset:         200
        .size:           4
        .value_kind:     hidden_block_count_z
      - .offset:         204
        .size:           2
        .value_kind:     hidden_group_size_x
      - .offset:         206
        .size:           2
        .value_kind:     hidden_group_size_y
      - .offset:         208
        .size:           2
        .value_kind:     hidden_group_size_z
      - .offset:         210
        .size:           2
        .value_kind:     hidden_remainder_x
      - .offset:         212
        .size:           2
        .value_kind:     hidden_remainder_y
      - .offset:         214
        .size:           2
        .value_kind:     hidden_remainder_z
      - .offset:         232
        .size:           8
        .value_kind:     hidden_global_offset_x
      - .offset:         240
        .size:           8
        .value_kind:     hidden_global_offset_y
      - .offset:         248
        .size:           8
        .value_kind:     hidden_global_offset_z
      - .offset:         256
        .size:           2
        .value_kind:     hidden_grid_dims
    .group_segment_fixed_size: 0
    .kernarg_segment_align: 8
    .kernarg_segment_size: 448
    .language:       OpenCL C
    .language_version:
      - 2
      - 0
    .max_flat_workgroup_size: 1024
    .name:           _ZN2at6native12_GLOBAL__N_128conv_depthwise3d_cuda_kernelIN3c108BFloat16EfLin1ELin1ELin1ELi1ELi1ELi1EEEvN5torch10headeronly6detail27GenericPackedTensorAccessorINS7_14TensorAccessorINS3_8ArrayRefIlEEKT_Lm4ENS6_16DefaultPtrTraitsEiEENS_6detail16IndexBoundsCheckILm5EiEESD_Lm5ESE_iEENS8_INS9_ISB_SC_Lm4ESE_iEESI_SC_Lm5ESE_iEESJ_PSD_iiiiiiiii
    .private_segment_fixed_size: 0
    .sgpr_count:     79
    .sgpr_spill_count: 0
    .symbol:         _ZN2at6native12_GLOBAL__N_128conv_depthwise3d_cuda_kernelIN3c108BFloat16EfLin1ELin1ELin1ELi1ELi1ELi1EEEvN5torch10headeronly6detail27GenericPackedTensorAccessorINS7_14TensorAccessorINS3_8ArrayRefIlEEKT_Lm4ENS6_16DefaultPtrTraitsEiEENS_6detail16IndexBoundsCheckILm5EiEESD_Lm5ESE_iEENS8_INS9_ISB_SC_Lm4ESE_iEESI_SC_Lm5ESE_iEESJ_PSD_iiiiiiiii.kd
    .uniform_work_group_size: 1
    .uses_dynamic_stack: false
    .vgpr_count:     24
    .vgpr_spill_count: 0
    .wavefront_size: 32
  - .args:
      - .offset:         0
        .size:           48
        .value_kind:     by_value
      - .offset:         48
        .size:           48
        .value_kind:     by_value
      - .offset:         96
        .size:           48
        .value_kind:     by_value
      - .address_space:  global
        .offset:         144
        .size:           8
        .value_kind:     global_buffer
      - .offset:         152
        .size:           4
        .value_kind:     by_value
      - .offset:         156
        .size:           4
        .value_kind:     by_value
      - .offset:         160
        .size:           4
        .value_kind:     by_value
      - .offset:         164
        .size:           4
        .value_kind:     by_value
      - .offset:         168
        .size:           4
        .value_kind:     by_value
      - .offset:         172
        .size:           4
        .value_kind:     by_value
      - .offset:         176
        .size:           4
        .value_kind:     by_value
      - .offset:         180
        .size:           4
        .value_kind:     by_value
      - .offset:         184
        .size:           4
        .value_kind:     by_value
      - .offset:         192
        .size:           4
        .value_kind:     hidden_block_count_x
      - .offset:         196
        .size:           4
        .value_kind:     hidden_block_count_y
      - .offset:         200
        .size:           4
        .value_kind:     hidden_block_count_z
      - .offset:         204
        .size:           2
        .value_kind:     hidden_group_size_x
      - .offset:         206
        .size:           2
        .value_kind:     hidden_group_size_y
      - .offset:         208
        .size:           2
        .value_kind:     hidden_group_size_z
      - .offset:         210
        .size:           2
        .value_kind:     hidden_remainder_x
      - .offset:         212
        .size:           2
        .value_kind:     hidden_remainder_y
      - .offset:         214
        .size:           2
        .value_kind:     hidden_remainder_z
      - .offset:         232
        .size:           8
        .value_kind:     hidden_global_offset_x
      - .offset:         240
        .size:           8
        .value_kind:     hidden_global_offset_y
      - .offset:         248
        .size:           8
        .value_kind:     hidden_global_offset_z
      - .offset:         256
        .size:           2
        .value_kind:     hidden_grid_dims
    .group_segment_fixed_size: 0
    .kernarg_segment_align: 8
    .kernarg_segment_size: 448
    .language:       OpenCL C
    .language_version:
      - 2
      - 0
    .max_flat_workgroup_size: 1024
    .name:           _ZN2at6native12_GLOBAL__N_128conv_depthwise3d_cuda_kernelIN3c108BFloat16EfLin1ELin1ELin1ELin1ELin1ELin1EEEvN5torch10headeronly6detail27GenericPackedTensorAccessorINS7_14TensorAccessorINS3_8ArrayRefIlEEKT_Lm4ENS6_16DefaultPtrTraitsEiEENS_6detail16IndexBoundsCheckILm5EiEESD_Lm5ESE_iEENS8_INS9_ISB_SC_Lm4ESE_iEESI_SC_Lm5ESE_iEESJ_PSD_iiiiiiiii
    .private_segment_fixed_size: 0
    .sgpr_count:     84
    .sgpr_spill_count: 0
    .symbol:         _ZN2at6native12_GLOBAL__N_128conv_depthwise3d_cuda_kernelIN3c108BFloat16EfLin1ELin1ELin1ELin1ELin1ELin1EEEvN5torch10headeronly6detail27GenericPackedTensorAccessorINS7_14TensorAccessorINS3_8ArrayRefIlEEKT_Lm4ENS6_16DefaultPtrTraitsEiEENS_6detail16IndexBoundsCheckILm5EiEESD_Lm5ESE_iEENS8_INS9_ISB_SC_Lm4ESE_iEESI_SC_Lm5ESE_iEESJ_PSD_iiiiiiiii.kd
    .uniform_work_group_size: 1
    .uses_dynamic_stack: false
    .vgpr_count:     24
    .vgpr_spill_count: 0
    .wavefront_size: 32
  - .args:
      - .offset:         0
        .size:           48
        .value_kind:     by_value
      - .offset:         48
        .size:           48
        .value_kind:     by_value
      - .offset:         96
        .size:           48
        .value_kind:     by_value
      - .offset:         144
        .size:           4
        .value_kind:     by_value
      - .offset:         148
        .size:           4
        .value_kind:     by_value
      - .offset:         152
        .size:           4
        .value_kind:     by_value
      - .offset:         156
        .size:           4
        .value_kind:     by_value
      - .offset:         160
        .size:           4
        .value_kind:     by_value
      - .offset:         164
        .size:           4
        .value_kind:     by_value
      - .offset:         168
        .size:           4
        .value_kind:     by_value
      - .offset:         172
        .size:           4
        .value_kind:     by_value
      - .offset:         176
        .size:           4
        .value_kind:     by_value
      - .offset:         184
        .size:           4
        .value_kind:     hidden_block_count_x
      - .offset:         188
        .size:           4
        .value_kind:     hidden_block_count_y
      - .offset:         192
        .size:           4
        .value_kind:     hidden_block_count_z
      - .offset:         196
        .size:           2
        .value_kind:     hidden_group_size_x
      - .offset:         198
        .size:           2
        .value_kind:     hidden_group_size_y
      - .offset:         200
        .size:           2
        .value_kind:     hidden_group_size_z
      - .offset:         202
        .size:           2
        .value_kind:     hidden_remainder_x
      - .offset:         204
        .size:           2
        .value_kind:     hidden_remainder_y
      - .offset:         206
        .size:           2
        .value_kind:     hidden_remainder_z
      - .offset:         224
        .size:           8
        .value_kind:     hidden_global_offset_x
      - .offset:         232
        .size:           8
        .value_kind:     hidden_global_offset_y
      - .offset:         240
        .size:           8
        .value_kind:     hidden_global_offset_z
      - .offset:         248
        .size:           2
        .value_kind:     hidden_grid_dims
    .group_segment_fixed_size: 0
    .kernarg_segment_align: 8
    .kernarg_segment_size: 440
    .language:       OpenCL C
    .language_version:
      - 2
      - 0
    .max_flat_workgroup_size: 1024
    .name:           _ZN2at6native12_GLOBAL__N_143conv_depthwise3d_cuda_backward_input_kernelIddLi3ELi3ELi3ELi1ELi1ELi1ELi1ELi1ELi1EEEvN5torch10headeronly6detail27GenericPackedTensorAccessorINS5_14TensorAccessorIN3c108ArrayRefIlEEKT_Lm4ENS4_16DefaultPtrTraitsEiEENS_6detail16IndexBoundsCheckILm5EiEESC_Lm5ESD_iEENS6_INS7_ISA_SB_Lm4ESD_iEESH_SB_Lm5ESD_iEESI_iiiiiiiii
    .private_segment_fixed_size: 224
    .sgpr_count:     83
    .sgpr_spill_count: 0
    .symbol:         _ZN2at6native12_GLOBAL__N_143conv_depthwise3d_cuda_backward_input_kernelIddLi3ELi3ELi3ELi1ELi1ELi1ELi1ELi1ELi1EEEvN5torch10headeronly6detail27GenericPackedTensorAccessorINS5_14TensorAccessorIN3c108ArrayRefIlEEKT_Lm4ENS4_16DefaultPtrTraitsEiEENS_6detail16IndexBoundsCheckILm5EiEESC_Lm5ESD_iEENS6_INS7_ISA_SB_Lm4ESD_iEESH_SB_Lm5ESD_iEESI_iiiiiiiii.kd
    .uniform_work_group_size: 1
    .uses_dynamic_stack: false
    .vgpr_count:     128
    .vgpr_spill_count: 55
    .wavefront_size: 32
  - .args:
      - .offset:         0
        .size:           48
        .value_kind:     by_value
      - .offset:         48
        .size:           48
        .value_kind:     by_value
      - .offset:         96
        .size:           48
        .value_kind:     by_value
      - .offset:         144
        .size:           4
        .value_kind:     by_value
      - .offset:         148
        .size:           4
        .value_kind:     by_value
      - .offset:         152
        .size:           4
        .value_kind:     by_value
      - .offset:         156
        .size:           4
        .value_kind:     by_value
      - .offset:         160
        .size:           4
        .value_kind:     by_value
      - .offset:         164
        .size:           4
        .value_kind:     by_value
      - .offset:         168
        .size:           4
        .value_kind:     by_value
      - .offset:         172
        .size:           4
        .value_kind:     by_value
      - .offset:         176
        .size:           4
        .value_kind:     by_value
      - .offset:         184
        .size:           4
        .value_kind:     hidden_block_count_x
      - .offset:         188
        .size:           4
        .value_kind:     hidden_block_count_y
      - .offset:         192
        .size:           4
        .value_kind:     hidden_block_count_z
      - .offset:         196
        .size:           2
        .value_kind:     hidden_group_size_x
      - .offset:         198
        .size:           2
        .value_kind:     hidden_group_size_y
      - .offset:         200
        .size:           2
        .value_kind:     hidden_group_size_z
      - .offset:         202
        .size:           2
        .value_kind:     hidden_remainder_x
      - .offset:         204
        .size:           2
        .value_kind:     hidden_remainder_y
      - .offset:         206
        .size:           2
        .value_kind:     hidden_remainder_z
      - .offset:         224
        .size:           8
        .value_kind:     hidden_global_offset_x
      - .offset:         232
        .size:           8
        .value_kind:     hidden_global_offset_y
      - .offset:         240
        .size:           8
        .value_kind:     hidden_global_offset_z
      - .offset:         248
        .size:           2
        .value_kind:     hidden_grid_dims
    .group_segment_fixed_size: 0
    .kernarg_segment_align: 8
    .kernarg_segment_size: 440
    .language:       OpenCL C
    .language_version:
      - 2
      - 0
    .max_flat_workgroup_size: 1024
    .name:           _ZN2at6native12_GLOBAL__N_143conv_depthwise3d_cuda_backward_input_kernelIddLi3ELi3ELi3ELi1ELi1ELi1ELin1ELin1ELin1EEEvN5torch10headeronly6detail27GenericPackedTensorAccessorINS5_14TensorAccessorIN3c108ArrayRefIlEEKT_Lm4ENS4_16DefaultPtrTraitsEiEENS_6detail16IndexBoundsCheckILm5EiEESC_Lm5ESD_iEENS6_INS7_ISA_SB_Lm4ESD_iEESH_SB_Lm5ESD_iEESI_iiiiiiiii
    .private_segment_fixed_size: 228
    .sgpr_count:     107
    .sgpr_spill_count: 25
    .symbol:         _ZN2at6native12_GLOBAL__N_143conv_depthwise3d_cuda_backward_input_kernelIddLi3ELi3ELi3ELi1ELi1ELi1ELin1ELin1ELin1EEEvN5torch10headeronly6detail27GenericPackedTensorAccessorINS5_14TensorAccessorIN3c108ArrayRefIlEEKT_Lm4ENS4_16DefaultPtrTraitsEiEENS_6detail16IndexBoundsCheckILm5EiEESC_Lm5ESD_iEENS6_INS7_ISA_SB_Lm4ESD_iEESH_SB_Lm5ESD_iEESI_iiiiiiiii.kd
    .uniform_work_group_size: 1
    .uses_dynamic_stack: false
    .vgpr_count:     128
    .vgpr_spill_count: 56
    .wavefront_size: 32
  - .args:
      - .offset:         0
        .size:           48
        .value_kind:     by_value
      - .offset:         48
        .size:           48
        .value_kind:     by_value
      - .offset:         96
        .size:           48
        .value_kind:     by_value
      - .offset:         144
        .size:           4
        .value_kind:     by_value
      - .offset:         148
        .size:           4
        .value_kind:     by_value
      - .offset:         152
        .size:           4
        .value_kind:     by_value
      - .offset:         156
        .size:           4
        .value_kind:     by_value
      - .offset:         160
        .size:           4
        .value_kind:     by_value
      - .offset:         164
        .size:           4
        .value_kind:     by_value
      - .offset:         168
        .size:           4
        .value_kind:     by_value
      - .offset:         172
        .size:           4
        .value_kind:     by_value
      - .offset:         176
        .size:           4
        .value_kind:     by_value
      - .offset:         184
        .size:           4
        .value_kind:     hidden_block_count_x
      - .offset:         188
        .size:           4
        .value_kind:     hidden_block_count_y
      - .offset:         192
        .size:           4
        .value_kind:     hidden_block_count_z
      - .offset:         196
        .size:           2
        .value_kind:     hidden_group_size_x
      - .offset:         198
        .size:           2
        .value_kind:     hidden_group_size_y
      - .offset:         200
        .size:           2
        .value_kind:     hidden_group_size_z
      - .offset:         202
        .size:           2
        .value_kind:     hidden_remainder_x
      - .offset:         204
        .size:           2
        .value_kind:     hidden_remainder_y
      - .offset:         206
        .size:           2
        .value_kind:     hidden_remainder_z
      - .offset:         224
        .size:           8
        .value_kind:     hidden_global_offset_x
      - .offset:         232
        .size:           8
        .value_kind:     hidden_global_offset_y
      - .offset:         240
        .size:           8
        .value_kind:     hidden_global_offset_z
      - .offset:         248
        .size:           2
        .value_kind:     hidden_grid_dims
    .group_segment_fixed_size: 0
    .kernarg_segment_align: 8
    .kernarg_segment_size: 440
    .language:       OpenCL C
    .language_version:
      - 2
      - 0
    .max_flat_workgroup_size: 1024
    .name:           _ZN2at6native12_GLOBAL__N_143conv_depthwise3d_cuda_backward_input_kernelIddLi3ELi3ELi3ELin1ELin1ELin1ELi1ELi1ELi1EEEvN5torch10headeronly6detail27GenericPackedTensorAccessorINS5_14TensorAccessorIN3c108ArrayRefIlEEKT_Lm4ENS4_16DefaultPtrTraitsEiEENS_6detail16IndexBoundsCheckILm5EiEESC_Lm5ESD_iEENS6_INS7_ISA_SB_Lm4ESD_iEESH_SB_Lm5ESD_iEESI_iiiiiiiii
    .private_segment_fixed_size: 224
    .sgpr_count:     89
    .sgpr_spill_count: 0
    .symbol:         _ZN2at6native12_GLOBAL__N_143conv_depthwise3d_cuda_backward_input_kernelIddLi3ELi3ELi3ELin1ELin1ELin1ELi1ELi1ELi1EEEvN5torch10headeronly6detail27GenericPackedTensorAccessorINS5_14TensorAccessorIN3c108ArrayRefIlEEKT_Lm4ENS4_16DefaultPtrTraitsEiEENS_6detail16IndexBoundsCheckILm5EiEESC_Lm5ESD_iEENS6_INS7_ISA_SB_Lm4ESD_iEESH_SB_Lm5ESD_iEESI_iiiiiiiii.kd
    .uniform_work_group_size: 1
    .uses_dynamic_stack: false
    .vgpr_count:     128
    .vgpr_spill_count: 55
    .wavefront_size: 32
  - .args:
      - .offset:         0
        .size:           48
        .value_kind:     by_value
      - .offset:         48
        .size:           48
        .value_kind:     by_value
      - .offset:         96
        .size:           48
        .value_kind:     by_value
      - .offset:         144
        .size:           4
        .value_kind:     by_value
      - .offset:         148
        .size:           4
        .value_kind:     by_value
      - .offset:         152
        .size:           4
        .value_kind:     by_value
      - .offset:         156
        .size:           4
        .value_kind:     by_value
      - .offset:         160
        .size:           4
        .value_kind:     by_value
      - .offset:         164
        .size:           4
        .value_kind:     by_value
      - .offset:         168
        .size:           4
        .value_kind:     by_value
      - .offset:         172
        .size:           4
        .value_kind:     by_value
      - .offset:         176
        .size:           4
        .value_kind:     by_value
      - .offset:         184
        .size:           4
        .value_kind:     hidden_block_count_x
      - .offset:         188
        .size:           4
        .value_kind:     hidden_block_count_y
      - .offset:         192
        .size:           4
        .value_kind:     hidden_block_count_z
      - .offset:         196
        .size:           2
        .value_kind:     hidden_group_size_x
      - .offset:         198
        .size:           2
        .value_kind:     hidden_group_size_y
      - .offset:         200
        .size:           2
        .value_kind:     hidden_group_size_z
      - .offset:         202
        .size:           2
        .value_kind:     hidden_remainder_x
      - .offset:         204
        .size:           2
        .value_kind:     hidden_remainder_y
      - .offset:         206
        .size:           2
        .value_kind:     hidden_remainder_z
      - .offset:         224
        .size:           8
        .value_kind:     hidden_global_offset_x
      - .offset:         232
        .size:           8
        .value_kind:     hidden_global_offset_y
      - .offset:         240
        .size:           8
        .value_kind:     hidden_global_offset_z
      - .offset:         248
        .size:           2
        .value_kind:     hidden_grid_dims
    .group_segment_fixed_size: 0
    .kernarg_segment_align: 8
    .kernarg_segment_size: 440
    .language:       OpenCL C
    .language_version:
      - 2
      - 0
    .max_flat_workgroup_size: 1024
    .name:           _ZN2at6native12_GLOBAL__N_143conv_depthwise3d_cuda_backward_input_kernelIddLi3ELi3ELi3ELin1ELin1ELin1ELin1ELin1ELin1EEEvN5torch10headeronly6detail27GenericPackedTensorAccessorINS5_14TensorAccessorIN3c108ArrayRefIlEEKT_Lm4ENS4_16DefaultPtrTraitsEiEENS_6detail16IndexBoundsCheckILm5EiEESC_Lm5ESD_iEENS6_INS7_ISA_SB_Lm4ESD_iEESH_SB_Lm5ESD_iEESI_iiiiiiiii
    .private_segment_fixed_size: 228
    .sgpr_count:     107
    .sgpr_spill_count: 31
    .symbol:         _ZN2at6native12_GLOBAL__N_143conv_depthwise3d_cuda_backward_input_kernelIddLi3ELi3ELi3ELin1ELin1ELin1ELin1ELin1ELin1EEEvN5torch10headeronly6detail27GenericPackedTensorAccessorINS5_14TensorAccessorIN3c108ArrayRefIlEEKT_Lm4ENS4_16DefaultPtrTraitsEiEENS_6detail16IndexBoundsCheckILm5EiEESC_Lm5ESD_iEENS6_INS7_ISA_SB_Lm4ESD_iEESH_SB_Lm5ESD_iEESI_iiiiiiiii.kd
    .uniform_work_group_size: 1
    .uses_dynamic_stack: false
    .vgpr_count:     128
    .vgpr_spill_count: 56
    .wavefront_size: 32
  - .args:
      - .offset:         0
        .size:           48
        .value_kind:     by_value
      - .offset:         48
        .size:           48
        .value_kind:     by_value
      - .offset:         96
        .size:           48
        .value_kind:     by_value
      - .offset:         144
        .size:           4
        .value_kind:     by_value
      - .offset:         148
        .size:           4
        .value_kind:     by_value
      - .offset:         152
        .size:           4
        .value_kind:     by_value
      - .offset:         156
        .size:           4
        .value_kind:     by_value
      - .offset:         160
        .size:           4
        .value_kind:     by_value
      - .offset:         164
        .size:           4
        .value_kind:     by_value
      - .offset:         168
        .size:           4
        .value_kind:     by_value
      - .offset:         172
        .size:           4
        .value_kind:     by_value
      - .offset:         176
        .size:           4
        .value_kind:     by_value
      - .offset:         184
        .size:           4
        .value_kind:     hidden_block_count_x
      - .offset:         188
        .size:           4
        .value_kind:     hidden_block_count_y
      - .offset:         192
        .size:           4
        .value_kind:     hidden_block_count_z
      - .offset:         196
        .size:           2
        .value_kind:     hidden_group_size_x
      - .offset:         198
        .size:           2
        .value_kind:     hidden_group_size_y
      - .offset:         200
        .size:           2
        .value_kind:     hidden_group_size_z
      - .offset:         202
        .size:           2
        .value_kind:     hidden_remainder_x
      - .offset:         204
        .size:           2
        .value_kind:     hidden_remainder_y
      - .offset:         206
        .size:           2
        .value_kind:     hidden_remainder_z
      - .offset:         224
        .size:           8
        .value_kind:     hidden_global_offset_x
      - .offset:         232
        .size:           8
        .value_kind:     hidden_global_offset_y
      - .offset:         240
        .size:           8
        .value_kind:     hidden_global_offset_z
      - .offset:         248
        .size:           2
        .value_kind:     hidden_grid_dims
    .group_segment_fixed_size: 0
    .kernarg_segment_align: 8
    .kernarg_segment_size: 440
    .language:       OpenCL C
    .language_version:
      - 2
      - 0
    .max_flat_workgroup_size: 1024
    .name:           _ZN2at6native12_GLOBAL__N_143conv_depthwise3d_cuda_backward_input_kernelIddLin1ELin1ELin1ELin1ELin1ELin1ELin1ELin1ELin1EEEvN5torch10headeronly6detail27GenericPackedTensorAccessorINS5_14TensorAccessorIN3c108ArrayRefIlEEKT_Lm4ENS4_16DefaultPtrTraitsEiEENS_6detail16IndexBoundsCheckILm5EiEESC_Lm5ESD_iEENS6_INS7_ISA_SB_Lm4ESD_iEESH_SB_Lm5ESD_iEESI_iiiiiiiii
    .private_segment_fixed_size: 0
    .sgpr_count:     85
    .sgpr_spill_count: 0
    .symbol:         _ZN2at6native12_GLOBAL__N_143conv_depthwise3d_cuda_backward_input_kernelIddLin1ELin1ELin1ELin1ELin1ELin1ELin1ELin1ELin1EEEvN5torch10headeronly6detail27GenericPackedTensorAccessorINS5_14TensorAccessorIN3c108ArrayRefIlEEKT_Lm4ENS4_16DefaultPtrTraitsEiEENS_6detail16IndexBoundsCheckILm5EiEESC_Lm5ESD_iEENS6_INS7_ISA_SB_Lm4ESD_iEESH_SB_Lm5ESD_iEESI_iiiiiiiii.kd
    .uniform_work_group_size: 1
    .uses_dynamic_stack: false
    .vgpr_count:     30
    .vgpr_spill_count: 0
    .wavefront_size: 32
  - .args:
      - .offset:         0
        .size:           48
        .value_kind:     by_value
      - .offset:         48
        .size:           48
        .value_kind:     by_value
      - .offset:         96
        .size:           48
        .value_kind:     by_value
      - .offset:         144
        .size:           4
        .value_kind:     by_value
      - .offset:         148
        .size:           4
        .value_kind:     by_value
      - .offset:         152
        .size:           4
        .value_kind:     by_value
      - .offset:         156
        .size:           4
        .value_kind:     by_value
      - .offset:         160
        .size:           4
        .value_kind:     by_value
      - .offset:         164
        .size:           4
        .value_kind:     by_value
      - .offset:         168
        .size:           4
        .value_kind:     by_value
      - .offset:         172
        .size:           4
        .value_kind:     by_value
      - .offset:         176
        .size:           4
        .value_kind:     by_value
      - .offset:         184
        .size:           4
        .value_kind:     hidden_block_count_x
      - .offset:         188
        .size:           4
        .value_kind:     hidden_block_count_y
      - .offset:         192
        .size:           4
        .value_kind:     hidden_block_count_z
      - .offset:         196
        .size:           2
        .value_kind:     hidden_group_size_x
      - .offset:         198
        .size:           2
        .value_kind:     hidden_group_size_y
      - .offset:         200
        .size:           2
        .value_kind:     hidden_group_size_z
      - .offset:         202
        .size:           2
        .value_kind:     hidden_remainder_x
      - .offset:         204
        .size:           2
        .value_kind:     hidden_remainder_y
      - .offset:         206
        .size:           2
        .value_kind:     hidden_remainder_z
      - .offset:         224
        .size:           8
        .value_kind:     hidden_global_offset_x
      - .offset:         232
        .size:           8
        .value_kind:     hidden_global_offset_y
      - .offset:         240
        .size:           8
        .value_kind:     hidden_global_offset_z
      - .offset:         248
        .size:           2
        .value_kind:     hidden_grid_dims
    .group_segment_fixed_size: 0
    .kernarg_segment_align: 8
    .kernarg_segment_size: 440
    .language:       OpenCL C
    .language_version:
      - 2
      - 0
    .max_flat_workgroup_size: 1024
    .name:           _ZN2at6native12_GLOBAL__N_143conv_depthwise3d_cuda_backward_input_kernelIffLi3ELi3ELi3ELi1ELi1ELi1ELi1ELi1ELi1EEEvN5torch10headeronly6detail27GenericPackedTensorAccessorINS5_14TensorAccessorIN3c108ArrayRefIlEEKT_Lm4ENS4_16DefaultPtrTraitsEiEENS_6detail16IndexBoundsCheckILm5EiEESC_Lm5ESD_iEENS6_INS7_ISA_SB_Lm4ESD_iEESH_SB_Lm5ESD_iEESI_iiiiiiiii
    .private_segment_fixed_size: 0
    .sgpr_count:     83
    .sgpr_spill_count: 0
    .symbol:         _ZN2at6native12_GLOBAL__N_143conv_depthwise3d_cuda_backward_input_kernelIffLi3ELi3ELi3ELi1ELi1ELi1ELi1ELi1ELi1EEEvN5torch10headeronly6detail27GenericPackedTensorAccessorINS5_14TensorAccessorIN3c108ArrayRefIlEEKT_Lm4ENS4_16DefaultPtrTraitsEiEENS_6detail16IndexBoundsCheckILm5EiEESC_Lm5ESD_iEENS6_INS7_ISA_SB_Lm4ESD_iEESH_SB_Lm5ESD_iEESI_iiiiiiiii.kd
    .uniform_work_group_size: 1
    .uses_dynamic_stack: false
    .vgpr_count:     126
    .vgpr_spill_count: 0
    .wavefront_size: 32
  - .args:
      - .offset:         0
        .size:           48
        .value_kind:     by_value
      - .offset:         48
        .size:           48
        .value_kind:     by_value
      - .offset:         96
        .size:           48
        .value_kind:     by_value
      - .offset:         144
        .size:           4
        .value_kind:     by_value
      - .offset:         148
        .size:           4
        .value_kind:     by_value
      - .offset:         152
        .size:           4
        .value_kind:     by_value
      - .offset:         156
        .size:           4
        .value_kind:     by_value
      - .offset:         160
        .size:           4
        .value_kind:     by_value
      - .offset:         164
        .size:           4
        .value_kind:     by_value
      - .offset:         168
        .size:           4
        .value_kind:     by_value
      - .offset:         172
        .size:           4
        .value_kind:     by_value
      - .offset:         176
        .size:           4
        .value_kind:     by_value
      - .offset:         184
        .size:           4
        .value_kind:     hidden_block_count_x
      - .offset:         188
        .size:           4
        .value_kind:     hidden_block_count_y
      - .offset:         192
        .size:           4
        .value_kind:     hidden_block_count_z
      - .offset:         196
        .size:           2
        .value_kind:     hidden_group_size_x
      - .offset:         198
        .size:           2
        .value_kind:     hidden_group_size_y
      - .offset:         200
        .size:           2
        .value_kind:     hidden_group_size_z
      - .offset:         202
        .size:           2
        .value_kind:     hidden_remainder_x
      - .offset:         204
        .size:           2
        .value_kind:     hidden_remainder_y
      - .offset:         206
        .size:           2
        .value_kind:     hidden_remainder_z
      - .offset:         224
        .size:           8
        .value_kind:     hidden_global_offset_x
      - .offset:         232
        .size:           8
        .value_kind:     hidden_global_offset_y
      - .offset:         240
        .size:           8
        .value_kind:     hidden_global_offset_z
      - .offset:         248
        .size:           2
        .value_kind:     hidden_grid_dims
    .group_segment_fixed_size: 0
    .kernarg_segment_align: 8
    .kernarg_segment_size: 440
    .language:       OpenCL C
    .language_version:
      - 2
      - 0
    .max_flat_workgroup_size: 1024
    .name:           _ZN2at6native12_GLOBAL__N_143conv_depthwise3d_cuda_backward_input_kernelIffLi3ELi3ELi3ELi1ELi1ELi1ELin1ELin1ELin1EEEvN5torch10headeronly6detail27GenericPackedTensorAccessorINS5_14TensorAccessorIN3c108ArrayRefIlEEKT_Lm4ENS4_16DefaultPtrTraitsEiEENS_6detail16IndexBoundsCheckILm5EiEESC_Lm5ESD_iEENS6_INS7_ISA_SB_Lm4ESD_iEESH_SB_Lm5ESD_iEESI_iiiiiiiii
    .private_segment_fixed_size: 0
    .sgpr_count:     107
    .sgpr_spill_count: 24
    .symbol:         _ZN2at6native12_GLOBAL__N_143conv_depthwise3d_cuda_backward_input_kernelIffLi3ELi3ELi3ELi1ELi1ELi1ELin1ELin1ELin1EEEvN5torch10headeronly6detail27GenericPackedTensorAccessorINS5_14TensorAccessorIN3c108ArrayRefIlEEKT_Lm4ENS4_16DefaultPtrTraitsEiEENS_6detail16IndexBoundsCheckILm5EiEESC_Lm5ESD_iEENS6_INS7_ISA_SB_Lm4ESD_iEESH_SB_Lm5ESD_iEESI_iiiiiiiii.kd
    .uniform_work_group_size: 1
    .uses_dynamic_stack: false
    .vgpr_count:     127
    .vgpr_spill_count: 0
    .wavefront_size: 32
  - .args:
      - .offset:         0
        .size:           48
        .value_kind:     by_value
      - .offset:         48
        .size:           48
        .value_kind:     by_value
      - .offset:         96
        .size:           48
        .value_kind:     by_value
      - .offset:         144
        .size:           4
        .value_kind:     by_value
      - .offset:         148
        .size:           4
        .value_kind:     by_value
      - .offset:         152
        .size:           4
        .value_kind:     by_value
      - .offset:         156
        .size:           4
        .value_kind:     by_value
      - .offset:         160
        .size:           4
        .value_kind:     by_value
      - .offset:         164
        .size:           4
        .value_kind:     by_value
      - .offset:         168
        .size:           4
        .value_kind:     by_value
      - .offset:         172
        .size:           4
        .value_kind:     by_value
      - .offset:         176
        .size:           4
        .value_kind:     by_value
      - .offset:         184
        .size:           4
        .value_kind:     hidden_block_count_x
      - .offset:         188
        .size:           4
        .value_kind:     hidden_block_count_y
      - .offset:         192
        .size:           4
        .value_kind:     hidden_block_count_z
      - .offset:         196
        .size:           2
        .value_kind:     hidden_group_size_x
      - .offset:         198
        .size:           2
        .value_kind:     hidden_group_size_y
      - .offset:         200
        .size:           2
        .value_kind:     hidden_group_size_z
      - .offset:         202
        .size:           2
        .value_kind:     hidden_remainder_x
      - .offset:         204
        .size:           2
        .value_kind:     hidden_remainder_y
      - .offset:         206
        .size:           2
        .value_kind:     hidden_remainder_z
      - .offset:         224
        .size:           8
        .value_kind:     hidden_global_offset_x
      - .offset:         232
        .size:           8
        .value_kind:     hidden_global_offset_y
      - .offset:         240
        .size:           8
        .value_kind:     hidden_global_offset_z
      - .offset:         248
        .size:           2
        .value_kind:     hidden_grid_dims
    .group_segment_fixed_size: 0
    .kernarg_segment_align: 8
    .kernarg_segment_size: 440
    .language:       OpenCL C
    .language_version:
      - 2
      - 0
    .max_flat_workgroup_size: 1024
    .name:           _ZN2at6native12_GLOBAL__N_143conv_depthwise3d_cuda_backward_input_kernelIffLi3ELi3ELi3ELin1ELin1ELin1ELi1ELi1ELi1EEEvN5torch10headeronly6detail27GenericPackedTensorAccessorINS5_14TensorAccessorIN3c108ArrayRefIlEEKT_Lm4ENS4_16DefaultPtrTraitsEiEENS_6detail16IndexBoundsCheckILm5EiEESC_Lm5ESD_iEENS6_INS7_ISA_SB_Lm4ESD_iEESH_SB_Lm5ESD_iEESI_iiiiiiiii
    .private_segment_fixed_size: 0
    .sgpr_count:     89
    .sgpr_spill_count: 0
    .symbol:         _ZN2at6native12_GLOBAL__N_143conv_depthwise3d_cuda_backward_input_kernelIffLi3ELi3ELi3ELin1ELin1ELin1ELi1ELi1ELi1EEEvN5torch10headeronly6detail27GenericPackedTensorAccessorINS5_14TensorAccessorIN3c108ArrayRefIlEEKT_Lm4ENS4_16DefaultPtrTraitsEiEENS_6detail16IndexBoundsCheckILm5EiEESC_Lm5ESD_iEENS6_INS7_ISA_SB_Lm4ESD_iEESH_SB_Lm5ESD_iEESI_iiiiiiiii.kd
    .uniform_work_group_size: 1
    .uses_dynamic_stack: false
    .vgpr_count:     126
    .vgpr_spill_count: 0
    .wavefront_size: 32
  - .args:
      - .offset:         0
        .size:           48
        .value_kind:     by_value
      - .offset:         48
        .size:           48
        .value_kind:     by_value
      - .offset:         96
        .size:           48
        .value_kind:     by_value
      - .offset:         144
        .size:           4
        .value_kind:     by_value
      - .offset:         148
        .size:           4
        .value_kind:     by_value
      - .offset:         152
        .size:           4
        .value_kind:     by_value
      - .offset:         156
        .size:           4
        .value_kind:     by_value
      - .offset:         160
        .size:           4
        .value_kind:     by_value
      - .offset:         164
        .size:           4
        .value_kind:     by_value
      - .offset:         168
        .size:           4
        .value_kind:     by_value
      - .offset:         172
        .size:           4
        .value_kind:     by_value
      - .offset:         176
        .size:           4
        .value_kind:     by_value
      - .offset:         184
        .size:           4
        .value_kind:     hidden_block_count_x
      - .offset:         188
        .size:           4
        .value_kind:     hidden_block_count_y
      - .offset:         192
        .size:           4
        .value_kind:     hidden_block_count_z
      - .offset:         196
        .size:           2
        .value_kind:     hidden_group_size_x
      - .offset:         198
        .size:           2
        .value_kind:     hidden_group_size_y
      - .offset:         200
        .size:           2
        .value_kind:     hidden_group_size_z
      - .offset:         202
        .size:           2
        .value_kind:     hidden_remainder_x
      - .offset:         204
        .size:           2
        .value_kind:     hidden_remainder_y
      - .offset:         206
        .size:           2
        .value_kind:     hidden_remainder_z
      - .offset:         224
        .size:           8
        .value_kind:     hidden_global_offset_x
      - .offset:         232
        .size:           8
        .value_kind:     hidden_global_offset_y
      - .offset:         240
        .size:           8
        .value_kind:     hidden_global_offset_z
      - .offset:         248
        .size:           2
        .value_kind:     hidden_grid_dims
    .group_segment_fixed_size: 0
    .kernarg_segment_align: 8
    .kernarg_segment_size: 440
    .language:       OpenCL C
    .language_version:
      - 2
      - 0
    .max_flat_workgroup_size: 1024
    .name:           _ZN2at6native12_GLOBAL__N_143conv_depthwise3d_cuda_backward_input_kernelIffLi3ELi3ELi3ELin1ELin1ELin1ELin1ELin1ELin1EEEvN5torch10headeronly6detail27GenericPackedTensorAccessorINS5_14TensorAccessorIN3c108ArrayRefIlEEKT_Lm4ENS4_16DefaultPtrTraitsEiEENS_6detail16IndexBoundsCheckILm5EiEESC_Lm5ESD_iEENS6_INS7_ISA_SB_Lm4ESD_iEESH_SB_Lm5ESD_iEESI_iiiiiiiii
    .private_segment_fixed_size: 0
    .sgpr_count:     107
    .sgpr_spill_count: 30
    .symbol:         _ZN2at6native12_GLOBAL__N_143conv_depthwise3d_cuda_backward_input_kernelIffLi3ELi3ELi3ELin1ELin1ELin1ELin1ELin1ELin1EEEvN5torch10headeronly6detail27GenericPackedTensorAccessorINS5_14TensorAccessorIN3c108ArrayRefIlEEKT_Lm4ENS4_16DefaultPtrTraitsEiEENS_6detail16IndexBoundsCheckILm5EiEESC_Lm5ESD_iEENS6_INS7_ISA_SB_Lm4ESD_iEESH_SB_Lm5ESD_iEESI_iiiiiiiii.kd
    .uniform_work_group_size: 1
    .uses_dynamic_stack: false
    .vgpr_count:     127
    .vgpr_spill_count: 0
    .wavefront_size: 32
  - .args:
      - .offset:         0
        .size:           48
        .value_kind:     by_value
      - .offset:         48
        .size:           48
        .value_kind:     by_value
      - .offset:         96
        .size:           48
        .value_kind:     by_value
      - .offset:         144
        .size:           4
        .value_kind:     by_value
      - .offset:         148
        .size:           4
        .value_kind:     by_value
      - .offset:         152
        .size:           4
        .value_kind:     by_value
      - .offset:         156
        .size:           4
        .value_kind:     by_value
      - .offset:         160
        .size:           4
        .value_kind:     by_value
      - .offset:         164
        .size:           4
        .value_kind:     by_value
      - .offset:         168
        .size:           4
        .value_kind:     by_value
      - .offset:         172
        .size:           4
        .value_kind:     by_value
      - .offset:         176
        .size:           4
        .value_kind:     by_value
      - .offset:         184
        .size:           4
        .value_kind:     hidden_block_count_x
      - .offset:         188
        .size:           4
        .value_kind:     hidden_block_count_y
      - .offset:         192
        .size:           4
        .value_kind:     hidden_block_count_z
      - .offset:         196
        .size:           2
        .value_kind:     hidden_group_size_x
      - .offset:         198
        .size:           2
        .value_kind:     hidden_group_size_y
      - .offset:         200
        .size:           2
        .value_kind:     hidden_group_size_z
      - .offset:         202
        .size:           2
        .value_kind:     hidden_remainder_x
      - .offset:         204
        .size:           2
        .value_kind:     hidden_remainder_y
      - .offset:         206
        .size:           2
        .value_kind:     hidden_remainder_z
      - .offset:         224
        .size:           8
        .value_kind:     hidden_global_offset_x
      - .offset:         232
        .size:           8
        .value_kind:     hidden_global_offset_y
      - .offset:         240
        .size:           8
        .value_kind:     hidden_global_offset_z
      - .offset:         248
        .size:           2
        .value_kind:     hidden_grid_dims
    .group_segment_fixed_size: 0
    .kernarg_segment_align: 8
    .kernarg_segment_size: 440
    .language:       OpenCL C
    .language_version:
      - 2
      - 0
    .max_flat_workgroup_size: 1024
    .name:           _ZN2at6native12_GLOBAL__N_143conv_depthwise3d_cuda_backward_input_kernelIffLin1ELin1ELin1ELin1ELin1ELin1ELin1ELin1ELin1EEEvN5torch10headeronly6detail27GenericPackedTensorAccessorINS5_14TensorAccessorIN3c108ArrayRefIlEEKT_Lm4ENS4_16DefaultPtrTraitsEiEENS_6detail16IndexBoundsCheckILm5EiEESC_Lm5ESD_iEENS6_INS7_ISA_SB_Lm4ESD_iEESH_SB_Lm5ESD_iEESI_iiiiiiiii
    .private_segment_fixed_size: 0
    .sgpr_count:     85
    .sgpr_spill_count: 0
    .symbol:         _ZN2at6native12_GLOBAL__N_143conv_depthwise3d_cuda_backward_input_kernelIffLin1ELin1ELin1ELin1ELin1ELin1ELin1ELin1ELin1EEEvN5torch10headeronly6detail27GenericPackedTensorAccessorINS5_14TensorAccessorIN3c108ArrayRefIlEEKT_Lm4ENS4_16DefaultPtrTraitsEiEENS_6detail16IndexBoundsCheckILm5EiEESC_Lm5ESD_iEENS6_INS7_ISA_SB_Lm4ESD_iEESH_SB_Lm5ESD_iEESI_iiiiiiiii.kd
    .uniform_work_group_size: 1
    .uses_dynamic_stack: false
    .vgpr_count:     28
    .vgpr_spill_count: 0
    .wavefront_size: 32
  - .args:
      - .offset:         0
        .size:           48
        .value_kind:     by_value
      - .offset:         48
        .size:           48
        .value_kind:     by_value
      - .offset:         96
        .size:           48
        .value_kind:     by_value
      - .offset:         144
        .size:           4
        .value_kind:     by_value
      - .offset:         148
        .size:           4
        .value_kind:     by_value
      - .offset:         152
        .size:           4
        .value_kind:     by_value
      - .offset:         156
        .size:           4
        .value_kind:     by_value
      - .offset:         160
        .size:           4
        .value_kind:     by_value
      - .offset:         164
        .size:           4
        .value_kind:     by_value
      - .offset:         168
        .size:           4
        .value_kind:     by_value
      - .offset:         172
        .size:           4
        .value_kind:     by_value
      - .offset:         176
        .size:           4
        .value_kind:     by_value
      - .offset:         184
        .size:           4
        .value_kind:     hidden_block_count_x
      - .offset:         188
        .size:           4
        .value_kind:     hidden_block_count_y
      - .offset:         192
        .size:           4
        .value_kind:     hidden_block_count_z
      - .offset:         196
        .size:           2
        .value_kind:     hidden_group_size_x
      - .offset:         198
        .size:           2
        .value_kind:     hidden_group_size_y
      - .offset:         200
        .size:           2
        .value_kind:     hidden_group_size_z
      - .offset:         202
        .size:           2
        .value_kind:     hidden_remainder_x
      - .offset:         204
        .size:           2
        .value_kind:     hidden_remainder_y
      - .offset:         206
        .size:           2
        .value_kind:     hidden_remainder_z
      - .offset:         224
        .size:           8
        .value_kind:     hidden_global_offset_x
      - .offset:         232
        .size:           8
        .value_kind:     hidden_global_offset_y
      - .offset:         240
        .size:           8
        .value_kind:     hidden_global_offset_z
      - .offset:         248
        .size:           2
        .value_kind:     hidden_grid_dims
    .group_segment_fixed_size: 0
    .kernarg_segment_align: 8
    .kernarg_segment_size: 440
    .language:       OpenCL C
    .language_version:
      - 2
      - 0
    .max_flat_workgroup_size: 1024
    .name:           _ZN2at6native12_GLOBAL__N_143conv_depthwise3d_cuda_backward_input_kernelIN3c104HalfEfLi3ELi3ELi3ELi1ELi1ELi1ELi1ELi1ELi1EEEvN5torch10headeronly6detail27GenericPackedTensorAccessorINS7_14TensorAccessorINS3_8ArrayRefIlEEKT_Lm4ENS6_16DefaultPtrTraitsEiEENS_6detail16IndexBoundsCheckILm5EiEESD_Lm5ESE_iEENS8_INS9_ISB_SC_Lm4ESE_iEESI_SC_Lm5ESE_iEESJ_iiiiiiiii
    .private_segment_fixed_size: 0
    .sgpr_count:     83
    .sgpr_spill_count: 0
    .symbol:         _ZN2at6native12_GLOBAL__N_143conv_depthwise3d_cuda_backward_input_kernelIN3c104HalfEfLi3ELi3ELi3ELi1ELi1ELi1ELi1ELi1ELi1EEEvN5torch10headeronly6detail27GenericPackedTensorAccessorINS7_14TensorAccessorINS3_8ArrayRefIlEEKT_Lm4ENS6_16DefaultPtrTraitsEiEENS_6detail16IndexBoundsCheckILm5EiEESD_Lm5ESE_iEENS8_INS9_ISB_SC_Lm4ESE_iEESI_SC_Lm5ESE_iEESJ_iiiiiiiii.kd
    .uniform_work_group_size: 1
    .uses_dynamic_stack: false
    .vgpr_count:     126
    .vgpr_spill_count: 0
    .wavefront_size: 32
  - .args:
      - .offset:         0
        .size:           48
        .value_kind:     by_value
      - .offset:         48
        .size:           48
        .value_kind:     by_value
      - .offset:         96
        .size:           48
        .value_kind:     by_value
      - .offset:         144
        .size:           4
        .value_kind:     by_value
      - .offset:         148
        .size:           4
        .value_kind:     by_value
      - .offset:         152
        .size:           4
        .value_kind:     by_value
      - .offset:         156
        .size:           4
        .value_kind:     by_value
      - .offset:         160
        .size:           4
        .value_kind:     by_value
      - .offset:         164
        .size:           4
        .value_kind:     by_value
      - .offset:         168
        .size:           4
        .value_kind:     by_value
      - .offset:         172
        .size:           4
        .value_kind:     by_value
      - .offset:         176
        .size:           4
        .value_kind:     by_value
      - .offset:         184
        .size:           4
        .value_kind:     hidden_block_count_x
      - .offset:         188
        .size:           4
        .value_kind:     hidden_block_count_y
      - .offset:         192
        .size:           4
        .value_kind:     hidden_block_count_z
      - .offset:         196
        .size:           2
        .value_kind:     hidden_group_size_x
      - .offset:         198
        .size:           2
        .value_kind:     hidden_group_size_y
      - .offset:         200
        .size:           2
        .value_kind:     hidden_group_size_z
      - .offset:         202
        .size:           2
        .value_kind:     hidden_remainder_x
      - .offset:         204
        .size:           2
        .value_kind:     hidden_remainder_y
      - .offset:         206
        .size:           2
        .value_kind:     hidden_remainder_z
      - .offset:         224
        .size:           8
        .value_kind:     hidden_global_offset_x
      - .offset:         232
        .size:           8
        .value_kind:     hidden_global_offset_y
      - .offset:         240
        .size:           8
        .value_kind:     hidden_global_offset_z
      - .offset:         248
        .size:           2
        .value_kind:     hidden_grid_dims
    .group_segment_fixed_size: 0
    .kernarg_segment_align: 8
    .kernarg_segment_size: 440
    .language:       OpenCL C
    .language_version:
      - 2
      - 0
    .max_flat_workgroup_size: 1024
    .name:           _ZN2at6native12_GLOBAL__N_143conv_depthwise3d_cuda_backward_input_kernelIN3c104HalfEfLi3ELi3ELi3ELi1ELi1ELi1ELin1ELin1ELin1EEEvN5torch10headeronly6detail27GenericPackedTensorAccessorINS7_14TensorAccessorINS3_8ArrayRefIlEEKT_Lm4ENS6_16DefaultPtrTraitsEiEENS_6detail16IndexBoundsCheckILm5EiEESD_Lm5ESE_iEENS8_INS9_ISB_SC_Lm4ESE_iEESI_SC_Lm5ESE_iEESJ_iiiiiiiii
    .private_segment_fixed_size: 0
    .sgpr_count:     107
    .sgpr_spill_count: 24
    .symbol:         _ZN2at6native12_GLOBAL__N_143conv_depthwise3d_cuda_backward_input_kernelIN3c104HalfEfLi3ELi3ELi3ELi1ELi1ELi1ELin1ELin1ELin1EEEvN5torch10headeronly6detail27GenericPackedTensorAccessorINS7_14TensorAccessorINS3_8ArrayRefIlEEKT_Lm4ENS6_16DefaultPtrTraitsEiEENS_6detail16IndexBoundsCheckILm5EiEESD_Lm5ESE_iEENS8_INS9_ISB_SC_Lm4ESE_iEESI_SC_Lm5ESE_iEESJ_iiiiiiiii.kd
    .uniform_work_group_size: 1
    .uses_dynamic_stack: false
    .vgpr_count:     127
    .vgpr_spill_count: 0
    .wavefront_size: 32
  - .args:
      - .offset:         0
        .size:           48
        .value_kind:     by_value
      - .offset:         48
        .size:           48
        .value_kind:     by_value
      - .offset:         96
        .size:           48
        .value_kind:     by_value
      - .offset:         144
        .size:           4
        .value_kind:     by_value
      - .offset:         148
        .size:           4
        .value_kind:     by_value
      - .offset:         152
        .size:           4
        .value_kind:     by_value
      - .offset:         156
        .size:           4
        .value_kind:     by_value
      - .offset:         160
        .size:           4
        .value_kind:     by_value
      - .offset:         164
        .size:           4
        .value_kind:     by_value
      - .offset:         168
        .size:           4
        .value_kind:     by_value
      - .offset:         172
        .size:           4
        .value_kind:     by_value
      - .offset:         176
        .size:           4
        .value_kind:     by_value
      - .offset:         184
        .size:           4
        .value_kind:     hidden_block_count_x
      - .offset:         188
        .size:           4
        .value_kind:     hidden_block_count_y
      - .offset:         192
        .size:           4
        .value_kind:     hidden_block_count_z
      - .offset:         196
        .size:           2
        .value_kind:     hidden_group_size_x
      - .offset:         198
        .size:           2
        .value_kind:     hidden_group_size_y
      - .offset:         200
        .size:           2
        .value_kind:     hidden_group_size_z
      - .offset:         202
        .size:           2
        .value_kind:     hidden_remainder_x
      - .offset:         204
        .size:           2
        .value_kind:     hidden_remainder_y
      - .offset:         206
        .size:           2
        .value_kind:     hidden_remainder_z
      - .offset:         224
        .size:           8
        .value_kind:     hidden_global_offset_x
      - .offset:         232
        .size:           8
        .value_kind:     hidden_global_offset_y
      - .offset:         240
        .size:           8
        .value_kind:     hidden_global_offset_z
      - .offset:         248
        .size:           2
        .value_kind:     hidden_grid_dims
    .group_segment_fixed_size: 0
    .kernarg_segment_align: 8
    .kernarg_segment_size: 440
    .language:       OpenCL C
    .language_version:
      - 2
      - 0
    .max_flat_workgroup_size: 1024
    .name:           _ZN2at6native12_GLOBAL__N_143conv_depthwise3d_cuda_backward_input_kernelIN3c104HalfEfLi3ELi3ELi3ELin1ELin1ELin1ELi1ELi1ELi1EEEvN5torch10headeronly6detail27GenericPackedTensorAccessorINS7_14TensorAccessorINS3_8ArrayRefIlEEKT_Lm4ENS6_16DefaultPtrTraitsEiEENS_6detail16IndexBoundsCheckILm5EiEESD_Lm5ESE_iEENS8_INS9_ISB_SC_Lm4ESE_iEESI_SC_Lm5ESE_iEESJ_iiiiiiiii
    .private_segment_fixed_size: 0
    .sgpr_count:     89
    .sgpr_spill_count: 0
    .symbol:         _ZN2at6native12_GLOBAL__N_143conv_depthwise3d_cuda_backward_input_kernelIN3c104HalfEfLi3ELi3ELi3ELin1ELin1ELin1ELi1ELi1ELi1EEEvN5torch10headeronly6detail27GenericPackedTensorAccessorINS7_14TensorAccessorINS3_8ArrayRefIlEEKT_Lm4ENS6_16DefaultPtrTraitsEiEENS_6detail16IndexBoundsCheckILm5EiEESD_Lm5ESE_iEENS8_INS9_ISB_SC_Lm4ESE_iEESI_SC_Lm5ESE_iEESJ_iiiiiiiii.kd
    .uniform_work_group_size: 1
    .uses_dynamic_stack: false
    .vgpr_count:     126
    .vgpr_spill_count: 0
    .wavefront_size: 32
  - .args:
      - .offset:         0
        .size:           48
        .value_kind:     by_value
      - .offset:         48
        .size:           48
        .value_kind:     by_value
      - .offset:         96
        .size:           48
        .value_kind:     by_value
      - .offset:         144
        .size:           4
        .value_kind:     by_value
      - .offset:         148
        .size:           4
        .value_kind:     by_value
      - .offset:         152
        .size:           4
        .value_kind:     by_value
      - .offset:         156
        .size:           4
        .value_kind:     by_value
      - .offset:         160
        .size:           4
        .value_kind:     by_value
      - .offset:         164
        .size:           4
        .value_kind:     by_value
      - .offset:         168
        .size:           4
        .value_kind:     by_value
      - .offset:         172
        .size:           4
        .value_kind:     by_value
      - .offset:         176
        .size:           4
        .value_kind:     by_value
      - .offset:         184
        .size:           4
        .value_kind:     hidden_block_count_x
      - .offset:         188
        .size:           4
        .value_kind:     hidden_block_count_y
      - .offset:         192
        .size:           4
        .value_kind:     hidden_block_count_z
      - .offset:         196
        .size:           2
        .value_kind:     hidden_group_size_x
      - .offset:         198
        .size:           2
        .value_kind:     hidden_group_size_y
      - .offset:         200
        .size:           2
        .value_kind:     hidden_group_size_z
      - .offset:         202
        .size:           2
        .value_kind:     hidden_remainder_x
      - .offset:         204
        .size:           2
        .value_kind:     hidden_remainder_y
      - .offset:         206
        .size:           2
        .value_kind:     hidden_remainder_z
      - .offset:         224
        .size:           8
        .value_kind:     hidden_global_offset_x
      - .offset:         232
        .size:           8
        .value_kind:     hidden_global_offset_y
      - .offset:         240
        .size:           8
        .value_kind:     hidden_global_offset_z
      - .offset:         248
        .size:           2
        .value_kind:     hidden_grid_dims
    .group_segment_fixed_size: 0
    .kernarg_segment_align: 8
    .kernarg_segment_size: 440
    .language:       OpenCL C
    .language_version:
      - 2
      - 0
    .max_flat_workgroup_size: 1024
    .name:           _ZN2at6native12_GLOBAL__N_143conv_depthwise3d_cuda_backward_input_kernelIN3c104HalfEfLi3ELi3ELi3ELin1ELin1ELin1ELin1ELin1ELin1EEEvN5torch10headeronly6detail27GenericPackedTensorAccessorINS7_14TensorAccessorINS3_8ArrayRefIlEEKT_Lm4ENS6_16DefaultPtrTraitsEiEENS_6detail16IndexBoundsCheckILm5EiEESD_Lm5ESE_iEENS8_INS9_ISB_SC_Lm4ESE_iEESI_SC_Lm5ESE_iEESJ_iiiiiiiii
    .private_segment_fixed_size: 0
    .sgpr_count:     107
    .sgpr_spill_count: 30
    .symbol:         _ZN2at6native12_GLOBAL__N_143conv_depthwise3d_cuda_backward_input_kernelIN3c104HalfEfLi3ELi3ELi3ELin1ELin1ELin1ELin1ELin1ELin1EEEvN5torch10headeronly6detail27GenericPackedTensorAccessorINS7_14TensorAccessorINS3_8ArrayRefIlEEKT_Lm4ENS6_16DefaultPtrTraitsEiEENS_6detail16IndexBoundsCheckILm5EiEESD_Lm5ESE_iEENS8_INS9_ISB_SC_Lm4ESE_iEESI_SC_Lm5ESE_iEESJ_iiiiiiiii.kd
    .uniform_work_group_size: 1
    .uses_dynamic_stack: false
    .vgpr_count:     127
    .vgpr_spill_count: 0
    .wavefront_size: 32
  - .args:
      - .offset:         0
        .size:           48
        .value_kind:     by_value
      - .offset:         48
        .size:           48
        .value_kind:     by_value
      - .offset:         96
        .size:           48
        .value_kind:     by_value
      - .offset:         144
        .size:           4
        .value_kind:     by_value
      - .offset:         148
        .size:           4
        .value_kind:     by_value
      - .offset:         152
        .size:           4
        .value_kind:     by_value
      - .offset:         156
        .size:           4
        .value_kind:     by_value
      - .offset:         160
        .size:           4
        .value_kind:     by_value
      - .offset:         164
        .size:           4
        .value_kind:     by_value
      - .offset:         168
        .size:           4
        .value_kind:     by_value
      - .offset:         172
        .size:           4
        .value_kind:     by_value
      - .offset:         176
        .size:           4
        .value_kind:     by_value
      - .offset:         184
        .size:           4
        .value_kind:     hidden_block_count_x
      - .offset:         188
        .size:           4
        .value_kind:     hidden_block_count_y
      - .offset:         192
        .size:           4
        .value_kind:     hidden_block_count_z
      - .offset:         196
        .size:           2
        .value_kind:     hidden_group_size_x
      - .offset:         198
        .size:           2
        .value_kind:     hidden_group_size_y
      - .offset:         200
        .size:           2
        .value_kind:     hidden_group_size_z
      - .offset:         202
        .size:           2
        .value_kind:     hidden_remainder_x
      - .offset:         204
        .size:           2
        .value_kind:     hidden_remainder_y
      - .offset:         206
        .size:           2
        .value_kind:     hidden_remainder_z
      - .offset:         224
        .size:           8
        .value_kind:     hidden_global_offset_x
      - .offset:         232
        .size:           8
        .value_kind:     hidden_global_offset_y
      - .offset:         240
        .size:           8
        .value_kind:     hidden_global_offset_z
      - .offset:         248
        .size:           2
        .value_kind:     hidden_grid_dims
    .group_segment_fixed_size: 0
    .kernarg_segment_align: 8
    .kernarg_segment_size: 440
    .language:       OpenCL C
    .language_version:
      - 2
      - 0
    .max_flat_workgroup_size: 1024
    .name:           _ZN2at6native12_GLOBAL__N_143conv_depthwise3d_cuda_backward_input_kernelIN3c104HalfEfLin1ELin1ELin1ELin1ELin1ELin1ELin1ELin1ELin1EEEvN5torch10headeronly6detail27GenericPackedTensorAccessorINS7_14TensorAccessorINS3_8ArrayRefIlEEKT_Lm4ENS6_16DefaultPtrTraitsEiEENS_6detail16IndexBoundsCheckILm5EiEESD_Lm5ESE_iEENS8_INS9_ISB_SC_Lm4ESE_iEESI_SC_Lm5ESE_iEESJ_iiiiiiiii
    .private_segment_fixed_size: 0
    .sgpr_count:     85
    .sgpr_spill_count: 0
    .symbol:         _ZN2at6native12_GLOBAL__N_143conv_depthwise3d_cuda_backward_input_kernelIN3c104HalfEfLin1ELin1ELin1ELin1ELin1ELin1ELin1ELin1ELin1EEEvN5torch10headeronly6detail27GenericPackedTensorAccessorINS7_14TensorAccessorINS3_8ArrayRefIlEEKT_Lm4ENS6_16DefaultPtrTraitsEiEENS_6detail16IndexBoundsCheckILm5EiEESD_Lm5ESE_iEENS8_INS9_ISB_SC_Lm4ESE_iEESI_SC_Lm5ESE_iEESJ_iiiiiiiii.kd
    .uniform_work_group_size: 1
    .uses_dynamic_stack: false
    .vgpr_count:     28
    .vgpr_spill_count: 0
    .wavefront_size: 32
  - .args:
      - .offset:         0
        .size:           48
        .value_kind:     by_value
      - .offset:         48
        .size:           48
        .value_kind:     by_value
      - .offset:         96
        .size:           48
        .value_kind:     by_value
      - .offset:         144
        .size:           4
        .value_kind:     by_value
      - .offset:         148
        .size:           4
        .value_kind:     by_value
      - .offset:         152
        .size:           4
        .value_kind:     by_value
      - .offset:         156
        .size:           4
        .value_kind:     by_value
      - .offset:         160
        .size:           4
        .value_kind:     by_value
      - .offset:         164
        .size:           4
        .value_kind:     by_value
      - .offset:         168
        .size:           4
        .value_kind:     by_value
      - .offset:         172
        .size:           4
        .value_kind:     by_value
      - .offset:         176
        .size:           4
        .value_kind:     by_value
      - .offset:         184
        .size:           4
        .value_kind:     hidden_block_count_x
      - .offset:         188
        .size:           4
        .value_kind:     hidden_block_count_y
      - .offset:         192
        .size:           4
        .value_kind:     hidden_block_count_z
      - .offset:         196
        .size:           2
        .value_kind:     hidden_group_size_x
      - .offset:         198
        .size:           2
        .value_kind:     hidden_group_size_y
      - .offset:         200
        .size:           2
        .value_kind:     hidden_group_size_z
      - .offset:         202
        .size:           2
        .value_kind:     hidden_remainder_x
      - .offset:         204
        .size:           2
        .value_kind:     hidden_remainder_y
      - .offset:         206
        .size:           2
        .value_kind:     hidden_remainder_z
      - .offset:         224
        .size:           8
        .value_kind:     hidden_global_offset_x
      - .offset:         232
        .size:           8
        .value_kind:     hidden_global_offset_y
      - .offset:         240
        .size:           8
        .value_kind:     hidden_global_offset_z
      - .offset:         248
        .size:           2
        .value_kind:     hidden_grid_dims
    .group_segment_fixed_size: 0
    .kernarg_segment_align: 8
    .kernarg_segment_size: 440
    .language:       OpenCL C
    .language_version:
      - 2
      - 0
    .max_flat_workgroup_size: 1024
    .name:           _ZN2at6native12_GLOBAL__N_143conv_depthwise3d_cuda_backward_input_kernelIN3c108BFloat16EfLi3ELi3ELi3ELi1ELi1ELi1ELi1ELi1ELi1EEEvN5torch10headeronly6detail27GenericPackedTensorAccessorINS7_14TensorAccessorINS3_8ArrayRefIlEEKT_Lm4ENS6_16DefaultPtrTraitsEiEENS_6detail16IndexBoundsCheckILm5EiEESD_Lm5ESE_iEENS8_INS9_ISB_SC_Lm4ESE_iEESI_SC_Lm5ESE_iEESJ_iiiiiiiii
    .private_segment_fixed_size: 0
    .sgpr_count:     83
    .sgpr_spill_count: 0
    .symbol:         _ZN2at6native12_GLOBAL__N_143conv_depthwise3d_cuda_backward_input_kernelIN3c108BFloat16EfLi3ELi3ELi3ELi1ELi1ELi1ELi1ELi1ELi1EEEvN5torch10headeronly6detail27GenericPackedTensorAccessorINS7_14TensorAccessorINS3_8ArrayRefIlEEKT_Lm4ENS6_16DefaultPtrTraitsEiEENS_6detail16IndexBoundsCheckILm5EiEESD_Lm5ESE_iEENS8_INS9_ISB_SC_Lm4ESE_iEESI_SC_Lm5ESE_iEESJ_iiiiiiiii.kd
    .uniform_work_group_size: 1
    .uses_dynamic_stack: false
    .vgpr_count:     128
    .vgpr_spill_count: 0
    .wavefront_size: 32
  - .args:
      - .offset:         0
        .size:           48
        .value_kind:     by_value
      - .offset:         48
        .size:           48
        .value_kind:     by_value
      - .offset:         96
        .size:           48
        .value_kind:     by_value
      - .offset:         144
        .size:           4
        .value_kind:     by_value
      - .offset:         148
        .size:           4
        .value_kind:     by_value
      - .offset:         152
        .size:           4
        .value_kind:     by_value
      - .offset:         156
        .size:           4
        .value_kind:     by_value
      - .offset:         160
        .size:           4
        .value_kind:     by_value
      - .offset:         164
        .size:           4
        .value_kind:     by_value
      - .offset:         168
        .size:           4
        .value_kind:     by_value
      - .offset:         172
        .size:           4
        .value_kind:     by_value
      - .offset:         176
        .size:           4
        .value_kind:     by_value
      - .offset:         184
        .size:           4
        .value_kind:     hidden_block_count_x
      - .offset:         188
        .size:           4
        .value_kind:     hidden_block_count_y
      - .offset:         192
        .size:           4
        .value_kind:     hidden_block_count_z
      - .offset:         196
        .size:           2
        .value_kind:     hidden_group_size_x
      - .offset:         198
        .size:           2
        .value_kind:     hidden_group_size_y
      - .offset:         200
        .size:           2
        .value_kind:     hidden_group_size_z
      - .offset:         202
        .size:           2
        .value_kind:     hidden_remainder_x
      - .offset:         204
        .size:           2
        .value_kind:     hidden_remainder_y
      - .offset:         206
        .size:           2
        .value_kind:     hidden_remainder_z
      - .offset:         224
        .size:           8
        .value_kind:     hidden_global_offset_x
      - .offset:         232
        .size:           8
        .value_kind:     hidden_global_offset_y
      - .offset:         240
        .size:           8
        .value_kind:     hidden_global_offset_z
      - .offset:         248
        .size:           2
        .value_kind:     hidden_grid_dims
    .group_segment_fixed_size: 0
    .kernarg_segment_align: 8
    .kernarg_segment_size: 440
    .language:       OpenCL C
    .language_version:
      - 2
      - 0
    .max_flat_workgroup_size: 1024
    .name:           _ZN2at6native12_GLOBAL__N_143conv_depthwise3d_cuda_backward_input_kernelIN3c108BFloat16EfLi3ELi3ELi3ELi1ELi1ELi1ELin1ELin1ELin1EEEvN5torch10headeronly6detail27GenericPackedTensorAccessorINS7_14TensorAccessorINS3_8ArrayRefIlEEKT_Lm4ENS6_16DefaultPtrTraitsEiEENS_6detail16IndexBoundsCheckILm5EiEESD_Lm5ESE_iEENS8_INS9_ISB_SC_Lm4ESE_iEESI_SC_Lm5ESE_iEESJ_iiiiiiiii
    .private_segment_fixed_size: 0
    .sgpr_count:     107
    .sgpr_spill_count: 24
    .symbol:         _ZN2at6native12_GLOBAL__N_143conv_depthwise3d_cuda_backward_input_kernelIN3c108BFloat16EfLi3ELi3ELi3ELi1ELi1ELi1ELin1ELin1ELin1EEEvN5torch10headeronly6detail27GenericPackedTensorAccessorINS7_14TensorAccessorINS3_8ArrayRefIlEEKT_Lm4ENS6_16DefaultPtrTraitsEiEENS_6detail16IndexBoundsCheckILm5EiEESD_Lm5ESE_iEENS8_INS9_ISB_SC_Lm4ESE_iEESI_SC_Lm5ESE_iEESJ_iiiiiiiii.kd
    .uniform_work_group_size: 1
    .uses_dynamic_stack: false
    .vgpr_count:     127
    .vgpr_spill_count: 0
    .wavefront_size: 32
  - .args:
      - .offset:         0
        .size:           48
        .value_kind:     by_value
      - .offset:         48
        .size:           48
        .value_kind:     by_value
      - .offset:         96
        .size:           48
        .value_kind:     by_value
      - .offset:         144
        .size:           4
        .value_kind:     by_value
      - .offset:         148
        .size:           4
        .value_kind:     by_value
      - .offset:         152
        .size:           4
        .value_kind:     by_value
      - .offset:         156
        .size:           4
        .value_kind:     by_value
      - .offset:         160
        .size:           4
        .value_kind:     by_value
      - .offset:         164
        .size:           4
        .value_kind:     by_value
      - .offset:         168
        .size:           4
        .value_kind:     by_value
      - .offset:         172
        .size:           4
        .value_kind:     by_value
      - .offset:         176
        .size:           4
        .value_kind:     by_value
      - .offset:         184
        .size:           4
        .value_kind:     hidden_block_count_x
      - .offset:         188
        .size:           4
        .value_kind:     hidden_block_count_y
      - .offset:         192
        .size:           4
        .value_kind:     hidden_block_count_z
      - .offset:         196
        .size:           2
        .value_kind:     hidden_group_size_x
      - .offset:         198
        .size:           2
        .value_kind:     hidden_group_size_y
      - .offset:         200
        .size:           2
        .value_kind:     hidden_group_size_z
      - .offset:         202
        .size:           2
        .value_kind:     hidden_remainder_x
      - .offset:         204
        .size:           2
        .value_kind:     hidden_remainder_y
      - .offset:         206
        .size:           2
        .value_kind:     hidden_remainder_z
      - .offset:         224
        .size:           8
        .value_kind:     hidden_global_offset_x
      - .offset:         232
        .size:           8
        .value_kind:     hidden_global_offset_y
      - .offset:         240
        .size:           8
        .value_kind:     hidden_global_offset_z
      - .offset:         248
        .size:           2
        .value_kind:     hidden_grid_dims
    .group_segment_fixed_size: 0
    .kernarg_segment_align: 8
    .kernarg_segment_size: 440
    .language:       OpenCL C
    .language_version:
      - 2
      - 0
    .max_flat_workgroup_size: 1024
    .name:           _ZN2at6native12_GLOBAL__N_143conv_depthwise3d_cuda_backward_input_kernelIN3c108BFloat16EfLi3ELi3ELi3ELin1ELin1ELin1ELi1ELi1ELi1EEEvN5torch10headeronly6detail27GenericPackedTensorAccessorINS7_14TensorAccessorINS3_8ArrayRefIlEEKT_Lm4ENS6_16DefaultPtrTraitsEiEENS_6detail16IndexBoundsCheckILm5EiEESD_Lm5ESE_iEENS8_INS9_ISB_SC_Lm4ESE_iEESI_SC_Lm5ESE_iEESJ_iiiiiiiii
    .private_segment_fixed_size: 0
    .sgpr_count:     89
    .sgpr_spill_count: 0
    .symbol:         _ZN2at6native12_GLOBAL__N_143conv_depthwise3d_cuda_backward_input_kernelIN3c108BFloat16EfLi3ELi3ELi3ELin1ELin1ELin1ELi1ELi1ELi1EEEvN5torch10headeronly6detail27GenericPackedTensorAccessorINS7_14TensorAccessorINS3_8ArrayRefIlEEKT_Lm4ENS6_16DefaultPtrTraitsEiEENS_6detail16IndexBoundsCheckILm5EiEESD_Lm5ESE_iEENS8_INS9_ISB_SC_Lm4ESE_iEESI_SC_Lm5ESE_iEESJ_iiiiiiiii.kd
    .uniform_work_group_size: 1
    .uses_dynamic_stack: false
    .vgpr_count:     128
    .vgpr_spill_count: 0
    .wavefront_size: 32
  - .args:
      - .offset:         0
        .size:           48
        .value_kind:     by_value
      - .offset:         48
        .size:           48
        .value_kind:     by_value
      - .offset:         96
        .size:           48
        .value_kind:     by_value
      - .offset:         144
        .size:           4
        .value_kind:     by_value
      - .offset:         148
        .size:           4
        .value_kind:     by_value
      - .offset:         152
        .size:           4
        .value_kind:     by_value
      - .offset:         156
        .size:           4
        .value_kind:     by_value
      - .offset:         160
        .size:           4
        .value_kind:     by_value
      - .offset:         164
        .size:           4
        .value_kind:     by_value
      - .offset:         168
        .size:           4
        .value_kind:     by_value
      - .offset:         172
        .size:           4
        .value_kind:     by_value
      - .offset:         176
        .size:           4
        .value_kind:     by_value
      - .offset:         184
        .size:           4
        .value_kind:     hidden_block_count_x
      - .offset:         188
        .size:           4
        .value_kind:     hidden_block_count_y
      - .offset:         192
        .size:           4
        .value_kind:     hidden_block_count_z
      - .offset:         196
        .size:           2
        .value_kind:     hidden_group_size_x
      - .offset:         198
        .size:           2
        .value_kind:     hidden_group_size_y
      - .offset:         200
        .size:           2
        .value_kind:     hidden_group_size_z
      - .offset:         202
        .size:           2
        .value_kind:     hidden_remainder_x
      - .offset:         204
        .size:           2
        .value_kind:     hidden_remainder_y
      - .offset:         206
        .size:           2
        .value_kind:     hidden_remainder_z
      - .offset:         224
        .size:           8
        .value_kind:     hidden_global_offset_x
      - .offset:         232
        .size:           8
        .value_kind:     hidden_global_offset_y
      - .offset:         240
        .size:           8
        .value_kind:     hidden_global_offset_z
      - .offset:         248
        .size:           2
        .value_kind:     hidden_grid_dims
    .group_segment_fixed_size: 0
    .kernarg_segment_align: 8
    .kernarg_segment_size: 440
    .language:       OpenCL C
    .language_version:
      - 2
      - 0
    .max_flat_workgroup_size: 1024
    .name:           _ZN2at6native12_GLOBAL__N_143conv_depthwise3d_cuda_backward_input_kernelIN3c108BFloat16EfLi3ELi3ELi3ELin1ELin1ELin1ELin1ELin1ELin1EEEvN5torch10headeronly6detail27GenericPackedTensorAccessorINS7_14TensorAccessorINS3_8ArrayRefIlEEKT_Lm4ENS6_16DefaultPtrTraitsEiEENS_6detail16IndexBoundsCheckILm5EiEESD_Lm5ESE_iEENS8_INS9_ISB_SC_Lm4ESE_iEESI_SC_Lm5ESE_iEESJ_iiiiiiiii
    .private_segment_fixed_size: 0
    .sgpr_count:     107
    .sgpr_spill_count: 30
    .symbol:         _ZN2at6native12_GLOBAL__N_143conv_depthwise3d_cuda_backward_input_kernelIN3c108BFloat16EfLi3ELi3ELi3ELin1ELin1ELin1ELin1ELin1ELin1EEEvN5torch10headeronly6detail27GenericPackedTensorAccessorINS7_14TensorAccessorINS3_8ArrayRefIlEEKT_Lm4ENS6_16DefaultPtrTraitsEiEENS_6detail16IndexBoundsCheckILm5EiEESD_Lm5ESE_iEENS8_INS9_ISB_SC_Lm4ESE_iEESI_SC_Lm5ESE_iEESJ_iiiiiiiii.kd
    .uniform_work_group_size: 1
    .uses_dynamic_stack: false
    .vgpr_count:     127
    .vgpr_spill_count: 0
    .wavefront_size: 32
  - .args:
      - .offset:         0
        .size:           48
        .value_kind:     by_value
      - .offset:         48
        .size:           48
        .value_kind:     by_value
      - .offset:         96
        .size:           48
        .value_kind:     by_value
      - .offset:         144
        .size:           4
        .value_kind:     by_value
      - .offset:         148
        .size:           4
        .value_kind:     by_value
      - .offset:         152
        .size:           4
        .value_kind:     by_value
      - .offset:         156
        .size:           4
        .value_kind:     by_value
      - .offset:         160
        .size:           4
        .value_kind:     by_value
      - .offset:         164
        .size:           4
        .value_kind:     by_value
      - .offset:         168
        .size:           4
        .value_kind:     by_value
      - .offset:         172
        .size:           4
        .value_kind:     by_value
      - .offset:         176
        .size:           4
        .value_kind:     by_value
      - .offset:         184
        .size:           4
        .value_kind:     hidden_block_count_x
      - .offset:         188
        .size:           4
        .value_kind:     hidden_block_count_y
      - .offset:         192
        .size:           4
        .value_kind:     hidden_block_count_z
      - .offset:         196
        .size:           2
        .value_kind:     hidden_group_size_x
      - .offset:         198
        .size:           2
        .value_kind:     hidden_group_size_y
      - .offset:         200
        .size:           2
        .value_kind:     hidden_group_size_z
      - .offset:         202
        .size:           2
        .value_kind:     hidden_remainder_x
      - .offset:         204
        .size:           2
        .value_kind:     hidden_remainder_y
      - .offset:         206
        .size:           2
        .value_kind:     hidden_remainder_z
      - .offset:         224
        .size:           8
        .value_kind:     hidden_global_offset_x
      - .offset:         232
        .size:           8
        .value_kind:     hidden_global_offset_y
      - .offset:         240
        .size:           8
        .value_kind:     hidden_global_offset_z
      - .offset:         248
        .size:           2
        .value_kind:     hidden_grid_dims
    .group_segment_fixed_size: 0
    .kernarg_segment_align: 8
    .kernarg_segment_size: 440
    .language:       OpenCL C
    .language_version:
      - 2
      - 0
    .max_flat_workgroup_size: 1024
    .name:           _ZN2at6native12_GLOBAL__N_143conv_depthwise3d_cuda_backward_input_kernelIN3c108BFloat16EfLin1ELin1ELin1ELin1ELin1ELin1ELin1ELin1ELin1EEEvN5torch10headeronly6detail27GenericPackedTensorAccessorINS7_14TensorAccessorINS3_8ArrayRefIlEEKT_Lm4ENS6_16DefaultPtrTraitsEiEENS_6detail16IndexBoundsCheckILm5EiEESD_Lm5ESE_iEENS8_INS9_ISB_SC_Lm4ESE_iEESI_SC_Lm5ESE_iEESJ_iiiiiiiii
    .private_segment_fixed_size: 0
    .sgpr_count:     85
    .sgpr_spill_count: 0
    .symbol:         _ZN2at6native12_GLOBAL__N_143conv_depthwise3d_cuda_backward_input_kernelIN3c108BFloat16EfLin1ELin1ELin1ELin1ELin1ELin1ELin1ELin1ELin1EEEvN5torch10headeronly6detail27GenericPackedTensorAccessorINS7_14TensorAccessorINS3_8ArrayRefIlEEKT_Lm4ENS6_16DefaultPtrTraitsEiEENS_6detail16IndexBoundsCheckILm5EiEESD_Lm5ESE_iEENS8_INS9_ISB_SC_Lm4ESE_iEESI_SC_Lm5ESE_iEESJ_iiiiiiiii.kd
    .uniform_work_group_size: 1
    .uses_dynamic_stack: false
    .vgpr_count:     28
    .vgpr_spill_count: 0
    .wavefront_size: 32
  - .args:
      - .offset:         0
        .size:           48
        .value_kind:     by_value
      - .offset:         48
        .size:           48
        .value_kind:     by_value
      - .offset:         96
        .size:           48
        .value_kind:     by_value
      - .offset:         144
        .size:           4
        .value_kind:     by_value
      - .offset:         148
        .size:           4
        .value_kind:     by_value
      - .offset:         152
        .size:           4
        .value_kind:     by_value
      - .offset:         156
        .size:           4
        .value_kind:     by_value
      - .offset:         160
        .size:           4
        .value_kind:     by_value
      - .offset:         164
        .size:           4
        .value_kind:     by_value
      - .offset:         168
        .size:           4
        .value_kind:     by_value
      - .offset:         172
        .size:           4
        .value_kind:     by_value
      - .offset:         176
        .size:           4
        .value_kind:     by_value
      - .offset:         184
        .size:           4
        .value_kind:     hidden_block_count_x
      - .offset:         188
        .size:           4
        .value_kind:     hidden_block_count_y
      - .offset:         192
        .size:           4
        .value_kind:     hidden_block_count_z
      - .offset:         196
        .size:           2
        .value_kind:     hidden_group_size_x
      - .offset:         198
        .size:           2
        .value_kind:     hidden_group_size_y
      - .offset:         200
        .size:           2
        .value_kind:     hidden_group_size_z
      - .offset:         202
        .size:           2
        .value_kind:     hidden_remainder_x
      - .offset:         204
        .size:           2
        .value_kind:     hidden_remainder_y
      - .offset:         206
        .size:           2
        .value_kind:     hidden_remainder_z
      - .offset:         224
        .size:           8
        .value_kind:     hidden_global_offset_x
      - .offset:         232
        .size:           8
        .value_kind:     hidden_global_offset_y
      - .offset:         240
        .size:           8
        .value_kind:     hidden_global_offset_z
      - .offset:         248
        .size:           2
        .value_kind:     hidden_grid_dims
      - .offset:         304
        .size:           4
        .value_kind:     hidden_dynamic_lds_size
    .group_segment_fixed_size: 0
    .kernarg_segment_align: 8
    .kernarg_segment_size: 440
    .language:       OpenCL C
    .language_version:
      - 2
      - 0
    .max_flat_workgroup_size: 1024
    .name:           _ZN2at6native12_GLOBAL__N_144conv_depthwise3d_cuda_backward_weight_kernelIddLi1ELi1EEEvN5torch10headeronly6detail27GenericPackedTensorAccessorINS5_14TensorAccessorIN3c108ArrayRefIlEEKT_Lm4ENS4_16DefaultPtrTraitsEiEENS_6detail16IndexBoundsCheckILm5EiEESC_Lm5ESD_iEESI_NS6_INS7_ISA_SB_Lm4ESD_iEESH_SB_Lm5ESD_iEEiiiiiiiii
    .private_segment_fixed_size: 0
    .sgpr_count:     48
    .sgpr_spill_count: 0
    .symbol:         _ZN2at6native12_GLOBAL__N_144conv_depthwise3d_cuda_backward_weight_kernelIddLi1ELi1EEEvN5torch10headeronly6detail27GenericPackedTensorAccessorINS5_14TensorAccessorIN3c108ArrayRefIlEEKT_Lm4ENS4_16DefaultPtrTraitsEiEENS_6detail16IndexBoundsCheckILm5EiEESC_Lm5ESD_iEESI_NS6_INS7_ISA_SB_Lm4ESD_iEESH_SB_Lm5ESD_iEEiiiiiiiii.kd
    .uniform_work_group_size: 1
    .uses_dynamic_stack: false
    .vgpr_count:     22
    .vgpr_spill_count: 0
    .wavefront_size: 32
  - .args:
      - .offset:         0
        .size:           48
        .value_kind:     by_value
      - .offset:         48
        .size:           48
        .value_kind:     by_value
      - .offset:         96
        .size:           48
        .value_kind:     by_value
      - .offset:         144
        .size:           4
        .value_kind:     by_value
      - .offset:         148
        .size:           4
        .value_kind:     by_value
      - .offset:         152
        .size:           4
        .value_kind:     by_value
      - .offset:         156
        .size:           4
        .value_kind:     by_value
      - .offset:         160
        .size:           4
        .value_kind:     by_value
      - .offset:         164
        .size:           4
        .value_kind:     by_value
      - .offset:         168
        .size:           4
        .value_kind:     by_value
      - .offset:         172
        .size:           4
        .value_kind:     by_value
      - .offset:         176
        .size:           4
        .value_kind:     by_value
      - .offset:         184
        .size:           4
        .value_kind:     hidden_block_count_x
      - .offset:         188
        .size:           4
        .value_kind:     hidden_block_count_y
      - .offset:         192
        .size:           4
        .value_kind:     hidden_block_count_z
      - .offset:         196
        .size:           2
        .value_kind:     hidden_group_size_x
      - .offset:         198
        .size:           2
        .value_kind:     hidden_group_size_y
      - .offset:         200
        .size:           2
        .value_kind:     hidden_group_size_z
      - .offset:         202
        .size:           2
        .value_kind:     hidden_remainder_x
      - .offset:         204
        .size:           2
        .value_kind:     hidden_remainder_y
      - .offset:         206
        .size:           2
        .value_kind:     hidden_remainder_z
      - .offset:         224
        .size:           8
        .value_kind:     hidden_global_offset_x
      - .offset:         232
        .size:           8
        .value_kind:     hidden_global_offset_y
      - .offset:         240
        .size:           8
        .value_kind:     hidden_global_offset_z
      - .offset:         248
        .size:           2
        .value_kind:     hidden_grid_dims
      - .offset:         304
        .size:           4
        .value_kind:     hidden_dynamic_lds_size
    .group_segment_fixed_size: 0
    .kernarg_segment_align: 8
    .kernarg_segment_size: 440
    .language:       OpenCL C
    .language_version:
      - 2
      - 0
    .max_flat_workgroup_size: 1024
    .name:           _ZN2at6native12_GLOBAL__N_144conv_depthwise3d_cuda_backward_weight_kernelIddLi2ELi2EEEvN5torch10headeronly6detail27GenericPackedTensorAccessorINS5_14TensorAccessorIN3c108ArrayRefIlEEKT_Lm4ENS4_16DefaultPtrTraitsEiEENS_6detail16IndexBoundsCheckILm5EiEESC_Lm5ESD_iEESI_NS6_INS7_ISA_SB_Lm4ESD_iEESH_SB_Lm5ESD_iEEiiiiiiiii
    .private_segment_fixed_size: 0
    .sgpr_count:     48
    .sgpr_spill_count: 0
    .symbol:         _ZN2at6native12_GLOBAL__N_144conv_depthwise3d_cuda_backward_weight_kernelIddLi2ELi2EEEvN5torch10headeronly6detail27GenericPackedTensorAccessorINS5_14TensorAccessorIN3c108ArrayRefIlEEKT_Lm4ENS4_16DefaultPtrTraitsEiEENS_6detail16IndexBoundsCheckILm5EiEESC_Lm5ESD_iEESI_NS6_INS7_ISA_SB_Lm4ESD_iEESH_SB_Lm5ESD_iEEiiiiiiiii.kd
    .uniform_work_group_size: 1
    .uses_dynamic_stack: false
    .vgpr_count:     22
    .vgpr_spill_count: 0
    .wavefront_size: 32
  - .args:
      - .offset:         0
        .size:           48
        .value_kind:     by_value
      - .offset:         48
        .size:           48
        .value_kind:     by_value
      - .offset:         96
        .size:           48
        .value_kind:     by_value
      - .offset:         144
        .size:           4
        .value_kind:     by_value
      - .offset:         148
        .size:           4
        .value_kind:     by_value
      - .offset:         152
        .size:           4
        .value_kind:     by_value
      - .offset:         156
        .size:           4
        .value_kind:     by_value
      - .offset:         160
        .size:           4
        .value_kind:     by_value
      - .offset:         164
        .size:           4
        .value_kind:     by_value
      - .offset:         168
        .size:           4
        .value_kind:     by_value
      - .offset:         172
        .size:           4
        .value_kind:     by_value
      - .offset:         176
        .size:           4
        .value_kind:     by_value
      - .offset:         184
        .size:           4
        .value_kind:     hidden_block_count_x
      - .offset:         188
        .size:           4
        .value_kind:     hidden_block_count_y
      - .offset:         192
        .size:           4
        .value_kind:     hidden_block_count_z
      - .offset:         196
        .size:           2
        .value_kind:     hidden_group_size_x
      - .offset:         198
        .size:           2
        .value_kind:     hidden_group_size_y
      - .offset:         200
        .size:           2
        .value_kind:     hidden_group_size_z
      - .offset:         202
        .size:           2
        .value_kind:     hidden_remainder_x
      - .offset:         204
        .size:           2
        .value_kind:     hidden_remainder_y
      - .offset:         206
        .size:           2
        .value_kind:     hidden_remainder_z
      - .offset:         224
        .size:           8
        .value_kind:     hidden_global_offset_x
      - .offset:         232
        .size:           8
        .value_kind:     hidden_global_offset_y
      - .offset:         240
        .size:           8
        .value_kind:     hidden_global_offset_z
      - .offset:         248
        .size:           2
        .value_kind:     hidden_grid_dims
      - .offset:         304
        .size:           4
        .value_kind:     hidden_dynamic_lds_size
    .group_segment_fixed_size: 0
    .kernarg_segment_align: 8
    .kernarg_segment_size: 440
    .language:       OpenCL C
    .language_version:
      - 2
      - 0
    .max_flat_workgroup_size: 1024
    .name:           _ZN2at6native12_GLOBAL__N_144conv_depthwise3d_cuda_backward_weight_kernelIddLin1ELin1EEEvN5torch10headeronly6detail27GenericPackedTensorAccessorINS5_14TensorAccessorIN3c108ArrayRefIlEEKT_Lm4ENS4_16DefaultPtrTraitsEiEENS_6detail16IndexBoundsCheckILm5EiEESC_Lm5ESD_iEESI_NS6_INS7_ISA_SB_Lm4ESD_iEESH_SB_Lm5ESD_iEEiiiiiiiii
    .private_segment_fixed_size: 0
    .sgpr_count:     50
    .sgpr_spill_count: 0
    .symbol:         _ZN2at6native12_GLOBAL__N_144conv_depthwise3d_cuda_backward_weight_kernelIddLin1ELin1EEEvN5torch10headeronly6detail27GenericPackedTensorAccessorINS5_14TensorAccessorIN3c108ArrayRefIlEEKT_Lm4ENS4_16DefaultPtrTraitsEiEENS_6detail16IndexBoundsCheckILm5EiEESC_Lm5ESD_iEESI_NS6_INS7_ISA_SB_Lm4ESD_iEESH_SB_Lm5ESD_iEEiiiiiiiii.kd
    .uniform_work_group_size: 1
    .uses_dynamic_stack: false
    .vgpr_count:     22
    .vgpr_spill_count: 0
    .wavefront_size: 32
  - .args:
      - .offset:         0
        .size:           48
        .value_kind:     by_value
      - .offset:         48
        .size:           48
        .value_kind:     by_value
      - .offset:         96
        .size:           48
        .value_kind:     by_value
      - .offset:         144
        .size:           4
        .value_kind:     by_value
      - .offset:         148
        .size:           4
        .value_kind:     by_value
      - .offset:         152
        .size:           4
        .value_kind:     by_value
      - .offset:         156
        .size:           4
        .value_kind:     by_value
      - .offset:         160
        .size:           4
        .value_kind:     by_value
      - .offset:         164
        .size:           4
        .value_kind:     by_value
      - .offset:         168
        .size:           4
        .value_kind:     by_value
      - .offset:         172
        .size:           4
        .value_kind:     by_value
      - .offset:         176
        .size:           4
        .value_kind:     by_value
      - .offset:         184
        .size:           4
        .value_kind:     hidden_block_count_x
      - .offset:         188
        .size:           4
        .value_kind:     hidden_block_count_y
      - .offset:         192
        .size:           4
        .value_kind:     hidden_block_count_z
      - .offset:         196
        .size:           2
        .value_kind:     hidden_group_size_x
      - .offset:         198
        .size:           2
        .value_kind:     hidden_group_size_y
      - .offset:         200
        .size:           2
        .value_kind:     hidden_group_size_z
      - .offset:         202
        .size:           2
        .value_kind:     hidden_remainder_x
      - .offset:         204
        .size:           2
        .value_kind:     hidden_remainder_y
      - .offset:         206
        .size:           2
        .value_kind:     hidden_remainder_z
      - .offset:         224
        .size:           8
        .value_kind:     hidden_global_offset_x
      - .offset:         232
        .size:           8
        .value_kind:     hidden_global_offset_y
      - .offset:         240
        .size:           8
        .value_kind:     hidden_global_offset_z
      - .offset:         248
        .size:           2
        .value_kind:     hidden_grid_dims
      - .offset:         304
        .size:           4
        .value_kind:     hidden_dynamic_lds_size
    .group_segment_fixed_size: 0
    .kernarg_segment_align: 8
    .kernarg_segment_size: 440
    .language:       OpenCL C
    .language_version:
      - 2
      - 0
    .max_flat_workgroup_size: 1024
    .name:           _ZN2at6native12_GLOBAL__N_144conv_depthwise3d_cuda_backward_weight_kernelIffLi1ELi1EEEvN5torch10headeronly6detail27GenericPackedTensorAccessorINS5_14TensorAccessorIN3c108ArrayRefIlEEKT_Lm4ENS4_16DefaultPtrTraitsEiEENS_6detail16IndexBoundsCheckILm5EiEESC_Lm5ESD_iEESI_NS6_INS7_ISA_SB_Lm4ESD_iEESH_SB_Lm5ESD_iEEiiiiiiiii
    .private_segment_fixed_size: 0
    .sgpr_count:     48
    .sgpr_spill_count: 0
    .symbol:         _ZN2at6native12_GLOBAL__N_144conv_depthwise3d_cuda_backward_weight_kernelIffLi1ELi1EEEvN5torch10headeronly6detail27GenericPackedTensorAccessorINS5_14TensorAccessorIN3c108ArrayRefIlEEKT_Lm4ENS4_16DefaultPtrTraitsEiEENS_6detail16IndexBoundsCheckILm5EiEESC_Lm5ESD_iEESI_NS6_INS7_ISA_SB_Lm4ESD_iEESH_SB_Lm5ESD_iEEiiiiiiiii.kd
    .uniform_work_group_size: 1
    .uses_dynamic_stack: false
    .vgpr_count:     20
    .vgpr_spill_count: 0
    .wavefront_size: 32
  - .args:
      - .offset:         0
        .size:           48
        .value_kind:     by_value
      - .offset:         48
        .size:           48
        .value_kind:     by_value
      - .offset:         96
        .size:           48
        .value_kind:     by_value
      - .offset:         144
        .size:           4
        .value_kind:     by_value
      - .offset:         148
        .size:           4
        .value_kind:     by_value
      - .offset:         152
        .size:           4
        .value_kind:     by_value
      - .offset:         156
        .size:           4
        .value_kind:     by_value
      - .offset:         160
        .size:           4
        .value_kind:     by_value
      - .offset:         164
        .size:           4
        .value_kind:     by_value
      - .offset:         168
        .size:           4
        .value_kind:     by_value
      - .offset:         172
        .size:           4
        .value_kind:     by_value
      - .offset:         176
        .size:           4
        .value_kind:     by_value
      - .offset:         184
        .size:           4
        .value_kind:     hidden_block_count_x
      - .offset:         188
        .size:           4
        .value_kind:     hidden_block_count_y
      - .offset:         192
        .size:           4
        .value_kind:     hidden_block_count_z
      - .offset:         196
        .size:           2
        .value_kind:     hidden_group_size_x
      - .offset:         198
        .size:           2
        .value_kind:     hidden_group_size_y
      - .offset:         200
        .size:           2
        .value_kind:     hidden_group_size_z
      - .offset:         202
        .size:           2
        .value_kind:     hidden_remainder_x
      - .offset:         204
        .size:           2
        .value_kind:     hidden_remainder_y
      - .offset:         206
        .size:           2
        .value_kind:     hidden_remainder_z
      - .offset:         224
        .size:           8
        .value_kind:     hidden_global_offset_x
      - .offset:         232
        .size:           8
        .value_kind:     hidden_global_offset_y
      - .offset:         240
        .size:           8
        .value_kind:     hidden_global_offset_z
      - .offset:         248
        .size:           2
        .value_kind:     hidden_grid_dims
      - .offset:         304
        .size:           4
        .value_kind:     hidden_dynamic_lds_size
    .group_segment_fixed_size: 0
    .kernarg_segment_align: 8
    .kernarg_segment_size: 440
    .language:       OpenCL C
    .language_version:
      - 2
      - 0
    .max_flat_workgroup_size: 1024
    .name:           _ZN2at6native12_GLOBAL__N_144conv_depthwise3d_cuda_backward_weight_kernelIffLi2ELi2EEEvN5torch10headeronly6detail27GenericPackedTensorAccessorINS5_14TensorAccessorIN3c108ArrayRefIlEEKT_Lm4ENS4_16DefaultPtrTraitsEiEENS_6detail16IndexBoundsCheckILm5EiEESC_Lm5ESD_iEESI_NS6_INS7_ISA_SB_Lm4ESD_iEESH_SB_Lm5ESD_iEEiiiiiiiii
    .private_segment_fixed_size: 0
    .sgpr_count:     48
    .sgpr_spill_count: 0
    .symbol:         _ZN2at6native12_GLOBAL__N_144conv_depthwise3d_cuda_backward_weight_kernelIffLi2ELi2EEEvN5torch10headeronly6detail27GenericPackedTensorAccessorINS5_14TensorAccessorIN3c108ArrayRefIlEEKT_Lm4ENS4_16DefaultPtrTraitsEiEENS_6detail16IndexBoundsCheckILm5EiEESC_Lm5ESD_iEESI_NS6_INS7_ISA_SB_Lm4ESD_iEESH_SB_Lm5ESD_iEEiiiiiiiii.kd
    .uniform_work_group_size: 1
    .uses_dynamic_stack: false
    .vgpr_count:     20
    .vgpr_spill_count: 0
    .wavefront_size: 32
  - .args:
      - .offset:         0
        .size:           48
        .value_kind:     by_value
      - .offset:         48
        .size:           48
        .value_kind:     by_value
      - .offset:         96
        .size:           48
        .value_kind:     by_value
      - .offset:         144
        .size:           4
        .value_kind:     by_value
      - .offset:         148
        .size:           4
        .value_kind:     by_value
      - .offset:         152
        .size:           4
        .value_kind:     by_value
      - .offset:         156
        .size:           4
        .value_kind:     by_value
      - .offset:         160
        .size:           4
        .value_kind:     by_value
      - .offset:         164
        .size:           4
        .value_kind:     by_value
      - .offset:         168
        .size:           4
        .value_kind:     by_value
      - .offset:         172
        .size:           4
        .value_kind:     by_value
      - .offset:         176
        .size:           4
        .value_kind:     by_value
      - .offset:         184
        .size:           4
        .value_kind:     hidden_block_count_x
      - .offset:         188
        .size:           4
        .value_kind:     hidden_block_count_y
      - .offset:         192
        .size:           4
        .value_kind:     hidden_block_count_z
      - .offset:         196
        .size:           2
        .value_kind:     hidden_group_size_x
      - .offset:         198
        .size:           2
        .value_kind:     hidden_group_size_y
      - .offset:         200
        .size:           2
        .value_kind:     hidden_group_size_z
      - .offset:         202
        .size:           2
        .value_kind:     hidden_remainder_x
      - .offset:         204
        .size:           2
        .value_kind:     hidden_remainder_y
      - .offset:         206
        .size:           2
        .value_kind:     hidden_remainder_z
      - .offset:         224
        .size:           8
        .value_kind:     hidden_global_offset_x
      - .offset:         232
        .size:           8
        .value_kind:     hidden_global_offset_y
      - .offset:         240
        .size:           8
        .value_kind:     hidden_global_offset_z
      - .offset:         248
        .size:           2
        .value_kind:     hidden_grid_dims
      - .offset:         304
        .size:           4
        .value_kind:     hidden_dynamic_lds_size
    .group_segment_fixed_size: 0
    .kernarg_segment_align: 8
    .kernarg_segment_size: 440
    .language:       OpenCL C
    .language_version:
      - 2
      - 0
    .max_flat_workgroup_size: 1024
    .name:           _ZN2at6native12_GLOBAL__N_144conv_depthwise3d_cuda_backward_weight_kernelIffLin1ELin1EEEvN5torch10headeronly6detail27GenericPackedTensorAccessorINS5_14TensorAccessorIN3c108ArrayRefIlEEKT_Lm4ENS4_16DefaultPtrTraitsEiEENS_6detail16IndexBoundsCheckILm5EiEESC_Lm5ESD_iEESI_NS6_INS7_ISA_SB_Lm4ESD_iEESH_SB_Lm5ESD_iEEiiiiiiiii
    .private_segment_fixed_size: 0
    .sgpr_count:     50
    .sgpr_spill_count: 0
    .symbol:         _ZN2at6native12_GLOBAL__N_144conv_depthwise3d_cuda_backward_weight_kernelIffLin1ELin1EEEvN5torch10headeronly6detail27GenericPackedTensorAccessorINS5_14TensorAccessorIN3c108ArrayRefIlEEKT_Lm4ENS4_16DefaultPtrTraitsEiEENS_6detail16IndexBoundsCheckILm5EiEESC_Lm5ESD_iEESI_NS6_INS7_ISA_SB_Lm4ESD_iEESH_SB_Lm5ESD_iEEiiiiiiiii.kd
    .uniform_work_group_size: 1
    .uses_dynamic_stack: false
    .vgpr_count:     20
    .vgpr_spill_count: 0
    .wavefront_size: 32
  - .args:
      - .offset:         0
        .size:           48
        .value_kind:     by_value
      - .offset:         48
        .size:           48
        .value_kind:     by_value
      - .offset:         96
        .size:           48
        .value_kind:     by_value
      - .offset:         144
        .size:           4
        .value_kind:     by_value
      - .offset:         148
        .size:           4
        .value_kind:     by_value
      - .offset:         152
        .size:           4
        .value_kind:     by_value
      - .offset:         156
        .size:           4
        .value_kind:     by_value
      - .offset:         160
        .size:           4
        .value_kind:     by_value
      - .offset:         164
        .size:           4
        .value_kind:     by_value
      - .offset:         168
        .size:           4
        .value_kind:     by_value
      - .offset:         172
        .size:           4
        .value_kind:     by_value
      - .offset:         176
        .size:           4
        .value_kind:     by_value
      - .offset:         184
        .size:           4
        .value_kind:     hidden_block_count_x
      - .offset:         188
        .size:           4
        .value_kind:     hidden_block_count_y
      - .offset:         192
        .size:           4
        .value_kind:     hidden_block_count_z
      - .offset:         196
        .size:           2
        .value_kind:     hidden_group_size_x
      - .offset:         198
        .size:           2
        .value_kind:     hidden_group_size_y
      - .offset:         200
        .size:           2
        .value_kind:     hidden_group_size_z
      - .offset:         202
        .size:           2
        .value_kind:     hidden_remainder_x
      - .offset:         204
        .size:           2
        .value_kind:     hidden_remainder_y
      - .offset:         206
        .size:           2
        .value_kind:     hidden_remainder_z
      - .offset:         224
        .size:           8
        .value_kind:     hidden_global_offset_x
      - .offset:         232
        .size:           8
        .value_kind:     hidden_global_offset_y
      - .offset:         240
        .size:           8
        .value_kind:     hidden_global_offset_z
      - .offset:         248
        .size:           2
        .value_kind:     hidden_grid_dims
      - .offset:         304
        .size:           4
        .value_kind:     hidden_dynamic_lds_size
    .group_segment_fixed_size: 0
    .kernarg_segment_align: 8
    .kernarg_segment_size: 440
    .language:       OpenCL C
    .language_version:
      - 2
      - 0
    .max_flat_workgroup_size: 1024
    .name:           _ZN2at6native12_GLOBAL__N_144conv_depthwise3d_cuda_backward_weight_kernelIN3c104HalfEfLi1ELi1EEEvN5torch10headeronly6detail27GenericPackedTensorAccessorINS7_14TensorAccessorINS3_8ArrayRefIlEEKT_Lm4ENS6_16DefaultPtrTraitsEiEENS_6detail16IndexBoundsCheckILm5EiEESD_Lm5ESE_iEESJ_NS8_INS9_ISB_SC_Lm4ESE_iEESI_SC_Lm5ESE_iEEiiiiiiiii
    .private_segment_fixed_size: 0
    .sgpr_count:     48
    .sgpr_spill_count: 0
    .symbol:         _ZN2at6native12_GLOBAL__N_144conv_depthwise3d_cuda_backward_weight_kernelIN3c104HalfEfLi1ELi1EEEvN5torch10headeronly6detail27GenericPackedTensorAccessorINS7_14TensorAccessorINS3_8ArrayRefIlEEKT_Lm4ENS6_16DefaultPtrTraitsEiEENS_6detail16IndexBoundsCheckILm5EiEESD_Lm5ESE_iEESJ_NS8_INS9_ISB_SC_Lm4ESE_iEESI_SC_Lm5ESE_iEEiiiiiiiii.kd
    .uniform_work_group_size: 1
    .uses_dynamic_stack: false
    .vgpr_count:     20
    .vgpr_spill_count: 0
    .wavefront_size: 32
  - .args:
      - .offset:         0
        .size:           48
        .value_kind:     by_value
      - .offset:         48
        .size:           48
        .value_kind:     by_value
      - .offset:         96
        .size:           48
        .value_kind:     by_value
      - .offset:         144
        .size:           4
        .value_kind:     by_value
      - .offset:         148
        .size:           4
        .value_kind:     by_value
      - .offset:         152
        .size:           4
        .value_kind:     by_value
      - .offset:         156
        .size:           4
        .value_kind:     by_value
      - .offset:         160
        .size:           4
        .value_kind:     by_value
      - .offset:         164
        .size:           4
        .value_kind:     by_value
      - .offset:         168
        .size:           4
        .value_kind:     by_value
      - .offset:         172
        .size:           4
        .value_kind:     by_value
      - .offset:         176
        .size:           4
        .value_kind:     by_value
      - .offset:         184
        .size:           4
        .value_kind:     hidden_block_count_x
      - .offset:         188
        .size:           4
        .value_kind:     hidden_block_count_y
      - .offset:         192
        .size:           4
        .value_kind:     hidden_block_count_z
      - .offset:         196
        .size:           2
        .value_kind:     hidden_group_size_x
      - .offset:         198
        .size:           2
        .value_kind:     hidden_group_size_y
      - .offset:         200
        .size:           2
        .value_kind:     hidden_group_size_z
      - .offset:         202
        .size:           2
        .value_kind:     hidden_remainder_x
      - .offset:         204
        .size:           2
        .value_kind:     hidden_remainder_y
      - .offset:         206
        .size:           2
        .value_kind:     hidden_remainder_z
      - .offset:         224
        .size:           8
        .value_kind:     hidden_global_offset_x
      - .offset:         232
        .size:           8
        .value_kind:     hidden_global_offset_y
      - .offset:         240
        .size:           8
        .value_kind:     hidden_global_offset_z
      - .offset:         248
        .size:           2
        .value_kind:     hidden_grid_dims
      - .offset:         304
        .size:           4
        .value_kind:     hidden_dynamic_lds_size
    .group_segment_fixed_size: 0
    .kernarg_segment_align: 8
    .kernarg_segment_size: 440
    .language:       OpenCL C
    .language_version:
      - 2
      - 0
    .max_flat_workgroup_size: 1024
    .name:           _ZN2at6native12_GLOBAL__N_144conv_depthwise3d_cuda_backward_weight_kernelIN3c104HalfEfLi2ELi2EEEvN5torch10headeronly6detail27GenericPackedTensorAccessorINS7_14TensorAccessorINS3_8ArrayRefIlEEKT_Lm4ENS6_16DefaultPtrTraitsEiEENS_6detail16IndexBoundsCheckILm5EiEESD_Lm5ESE_iEESJ_NS8_INS9_ISB_SC_Lm4ESE_iEESI_SC_Lm5ESE_iEEiiiiiiiii
    .private_segment_fixed_size: 0
    .sgpr_count:     48
    .sgpr_spill_count: 0
    .symbol:         _ZN2at6native12_GLOBAL__N_144conv_depthwise3d_cuda_backward_weight_kernelIN3c104HalfEfLi2ELi2EEEvN5torch10headeronly6detail27GenericPackedTensorAccessorINS7_14TensorAccessorINS3_8ArrayRefIlEEKT_Lm4ENS6_16DefaultPtrTraitsEiEENS_6detail16IndexBoundsCheckILm5EiEESD_Lm5ESE_iEESJ_NS8_INS9_ISB_SC_Lm4ESE_iEESI_SC_Lm5ESE_iEEiiiiiiiii.kd
    .uniform_work_group_size: 1
    .uses_dynamic_stack: false
    .vgpr_count:     20
    .vgpr_spill_count: 0
    .wavefront_size: 32
  - .args:
      - .offset:         0
        .size:           48
        .value_kind:     by_value
      - .offset:         48
        .size:           48
        .value_kind:     by_value
      - .offset:         96
        .size:           48
        .value_kind:     by_value
      - .offset:         144
        .size:           4
        .value_kind:     by_value
      - .offset:         148
        .size:           4
        .value_kind:     by_value
      - .offset:         152
        .size:           4
        .value_kind:     by_value
      - .offset:         156
        .size:           4
        .value_kind:     by_value
      - .offset:         160
        .size:           4
        .value_kind:     by_value
      - .offset:         164
        .size:           4
        .value_kind:     by_value
      - .offset:         168
        .size:           4
        .value_kind:     by_value
      - .offset:         172
        .size:           4
        .value_kind:     by_value
      - .offset:         176
        .size:           4
        .value_kind:     by_value
      - .offset:         184
        .size:           4
        .value_kind:     hidden_block_count_x
      - .offset:         188
        .size:           4
        .value_kind:     hidden_block_count_y
      - .offset:         192
        .size:           4
        .value_kind:     hidden_block_count_z
      - .offset:         196
        .size:           2
        .value_kind:     hidden_group_size_x
      - .offset:         198
        .size:           2
        .value_kind:     hidden_group_size_y
      - .offset:         200
        .size:           2
        .value_kind:     hidden_group_size_z
      - .offset:         202
        .size:           2
        .value_kind:     hidden_remainder_x
      - .offset:         204
        .size:           2
        .value_kind:     hidden_remainder_y
      - .offset:         206
        .size:           2
        .value_kind:     hidden_remainder_z
      - .offset:         224
        .size:           8
        .value_kind:     hidden_global_offset_x
      - .offset:         232
        .size:           8
        .value_kind:     hidden_global_offset_y
      - .offset:         240
        .size:           8
        .value_kind:     hidden_global_offset_z
      - .offset:         248
        .size:           2
        .value_kind:     hidden_grid_dims
      - .offset:         304
        .size:           4
        .value_kind:     hidden_dynamic_lds_size
    .group_segment_fixed_size: 0
    .kernarg_segment_align: 8
    .kernarg_segment_size: 440
    .language:       OpenCL C
    .language_version:
      - 2
      - 0
    .max_flat_workgroup_size: 1024
    .name:           _ZN2at6native12_GLOBAL__N_144conv_depthwise3d_cuda_backward_weight_kernelIN3c104HalfEfLin1ELin1EEEvN5torch10headeronly6detail27GenericPackedTensorAccessorINS7_14TensorAccessorINS3_8ArrayRefIlEEKT_Lm4ENS6_16DefaultPtrTraitsEiEENS_6detail16IndexBoundsCheckILm5EiEESD_Lm5ESE_iEESJ_NS8_INS9_ISB_SC_Lm4ESE_iEESI_SC_Lm5ESE_iEEiiiiiiiii
    .private_segment_fixed_size: 0
    .sgpr_count:     50
    .sgpr_spill_count: 0
    .symbol:         _ZN2at6native12_GLOBAL__N_144conv_depthwise3d_cuda_backward_weight_kernelIN3c104HalfEfLin1ELin1EEEvN5torch10headeronly6detail27GenericPackedTensorAccessorINS7_14TensorAccessorINS3_8ArrayRefIlEEKT_Lm4ENS6_16DefaultPtrTraitsEiEENS_6detail16IndexBoundsCheckILm5EiEESD_Lm5ESE_iEESJ_NS8_INS9_ISB_SC_Lm4ESE_iEESI_SC_Lm5ESE_iEEiiiiiiiii.kd
    .uniform_work_group_size: 1
    .uses_dynamic_stack: false
    .vgpr_count:     20
    .vgpr_spill_count: 0
    .wavefront_size: 32
  - .args:
      - .offset:         0
        .size:           48
        .value_kind:     by_value
      - .offset:         48
        .size:           48
        .value_kind:     by_value
      - .offset:         96
        .size:           48
        .value_kind:     by_value
      - .offset:         144
        .size:           4
        .value_kind:     by_value
      - .offset:         148
        .size:           4
        .value_kind:     by_value
      - .offset:         152
        .size:           4
        .value_kind:     by_value
      - .offset:         156
        .size:           4
        .value_kind:     by_value
      - .offset:         160
        .size:           4
        .value_kind:     by_value
      - .offset:         164
        .size:           4
        .value_kind:     by_value
      - .offset:         168
        .size:           4
        .value_kind:     by_value
      - .offset:         172
        .size:           4
        .value_kind:     by_value
      - .offset:         176
        .size:           4
        .value_kind:     by_value
      - .offset:         184
        .size:           4
        .value_kind:     hidden_block_count_x
      - .offset:         188
        .size:           4
        .value_kind:     hidden_block_count_y
      - .offset:         192
        .size:           4
        .value_kind:     hidden_block_count_z
      - .offset:         196
        .size:           2
        .value_kind:     hidden_group_size_x
      - .offset:         198
        .size:           2
        .value_kind:     hidden_group_size_y
      - .offset:         200
        .size:           2
        .value_kind:     hidden_group_size_z
      - .offset:         202
        .size:           2
        .value_kind:     hidden_remainder_x
      - .offset:         204
        .size:           2
        .value_kind:     hidden_remainder_y
      - .offset:         206
        .size:           2
        .value_kind:     hidden_remainder_z
      - .offset:         224
        .size:           8
        .value_kind:     hidden_global_offset_x
      - .offset:         232
        .size:           8
        .value_kind:     hidden_global_offset_y
      - .offset:         240
        .size:           8
        .value_kind:     hidden_global_offset_z
      - .offset:         248
        .size:           2
        .value_kind:     hidden_grid_dims
      - .offset:         304
        .size:           4
        .value_kind:     hidden_dynamic_lds_size
    .group_segment_fixed_size: 0
    .kernarg_segment_align: 8
    .kernarg_segment_size: 440
    .language:       OpenCL C
    .language_version:
      - 2
      - 0
    .max_flat_workgroup_size: 1024
    .name:           _ZN2at6native12_GLOBAL__N_144conv_depthwise3d_cuda_backward_weight_kernelIN3c108BFloat16EfLi1ELi1EEEvN5torch10headeronly6detail27GenericPackedTensorAccessorINS7_14TensorAccessorINS3_8ArrayRefIlEEKT_Lm4ENS6_16DefaultPtrTraitsEiEENS_6detail16IndexBoundsCheckILm5EiEESD_Lm5ESE_iEESJ_NS8_INS9_ISB_SC_Lm4ESE_iEESI_SC_Lm5ESE_iEEiiiiiiiii
    .private_segment_fixed_size: 0
    .sgpr_count:     48
    .sgpr_spill_count: 0
    .symbol:         _ZN2at6native12_GLOBAL__N_144conv_depthwise3d_cuda_backward_weight_kernelIN3c108BFloat16EfLi1ELi1EEEvN5torch10headeronly6detail27GenericPackedTensorAccessorINS7_14TensorAccessorINS3_8ArrayRefIlEEKT_Lm4ENS6_16DefaultPtrTraitsEiEENS_6detail16IndexBoundsCheckILm5EiEESD_Lm5ESE_iEESJ_NS8_INS9_ISB_SC_Lm4ESE_iEESI_SC_Lm5ESE_iEEiiiiiiiii.kd
    .uniform_work_group_size: 1
    .uses_dynamic_stack: false
    .vgpr_count:     20
    .vgpr_spill_count: 0
    .wavefront_size: 32
  - .args:
      - .offset:         0
        .size:           48
        .value_kind:     by_value
      - .offset:         48
        .size:           48
        .value_kind:     by_value
      - .offset:         96
        .size:           48
        .value_kind:     by_value
      - .offset:         144
        .size:           4
        .value_kind:     by_value
      - .offset:         148
        .size:           4
        .value_kind:     by_value
      - .offset:         152
        .size:           4
        .value_kind:     by_value
      - .offset:         156
        .size:           4
        .value_kind:     by_value
      - .offset:         160
        .size:           4
        .value_kind:     by_value
      - .offset:         164
        .size:           4
        .value_kind:     by_value
      - .offset:         168
        .size:           4
        .value_kind:     by_value
      - .offset:         172
        .size:           4
        .value_kind:     by_value
      - .offset:         176
        .size:           4
        .value_kind:     by_value
      - .offset:         184
        .size:           4
        .value_kind:     hidden_block_count_x
      - .offset:         188
        .size:           4
        .value_kind:     hidden_block_count_y
      - .offset:         192
        .size:           4
        .value_kind:     hidden_block_count_z
      - .offset:         196
        .size:           2
        .value_kind:     hidden_group_size_x
      - .offset:         198
        .size:           2
        .value_kind:     hidden_group_size_y
      - .offset:         200
        .size:           2
        .value_kind:     hidden_group_size_z
      - .offset:         202
        .size:           2
        .value_kind:     hidden_remainder_x
      - .offset:         204
        .size:           2
        .value_kind:     hidden_remainder_y
      - .offset:         206
        .size:           2
        .value_kind:     hidden_remainder_z
      - .offset:         224
        .size:           8
        .value_kind:     hidden_global_offset_x
      - .offset:         232
        .size:           8
        .value_kind:     hidden_global_offset_y
      - .offset:         240
        .size:           8
        .value_kind:     hidden_global_offset_z
      - .offset:         248
        .size:           2
        .value_kind:     hidden_grid_dims
      - .offset:         304
        .size:           4
        .value_kind:     hidden_dynamic_lds_size
    .group_segment_fixed_size: 0
    .kernarg_segment_align: 8
    .kernarg_segment_size: 440
    .language:       OpenCL C
    .language_version:
      - 2
      - 0
    .max_flat_workgroup_size: 1024
    .name:           _ZN2at6native12_GLOBAL__N_144conv_depthwise3d_cuda_backward_weight_kernelIN3c108BFloat16EfLi2ELi2EEEvN5torch10headeronly6detail27GenericPackedTensorAccessorINS7_14TensorAccessorINS3_8ArrayRefIlEEKT_Lm4ENS6_16DefaultPtrTraitsEiEENS_6detail16IndexBoundsCheckILm5EiEESD_Lm5ESE_iEESJ_NS8_INS9_ISB_SC_Lm4ESE_iEESI_SC_Lm5ESE_iEEiiiiiiiii
    .private_segment_fixed_size: 0
    .sgpr_count:     48
    .sgpr_spill_count: 0
    .symbol:         _ZN2at6native12_GLOBAL__N_144conv_depthwise3d_cuda_backward_weight_kernelIN3c108BFloat16EfLi2ELi2EEEvN5torch10headeronly6detail27GenericPackedTensorAccessorINS7_14TensorAccessorINS3_8ArrayRefIlEEKT_Lm4ENS6_16DefaultPtrTraitsEiEENS_6detail16IndexBoundsCheckILm5EiEESD_Lm5ESE_iEESJ_NS8_INS9_ISB_SC_Lm4ESE_iEESI_SC_Lm5ESE_iEEiiiiiiiii.kd
    .uniform_work_group_size: 1
    .uses_dynamic_stack: false
    .vgpr_count:     20
    .vgpr_spill_count: 0
    .wavefront_size: 32
  - .args:
      - .offset:         0
        .size:           48
        .value_kind:     by_value
      - .offset:         48
        .size:           48
        .value_kind:     by_value
      - .offset:         96
        .size:           48
        .value_kind:     by_value
      - .offset:         144
        .size:           4
        .value_kind:     by_value
      - .offset:         148
        .size:           4
        .value_kind:     by_value
      - .offset:         152
        .size:           4
        .value_kind:     by_value
      - .offset:         156
        .size:           4
        .value_kind:     by_value
      - .offset:         160
        .size:           4
        .value_kind:     by_value
      - .offset:         164
        .size:           4
        .value_kind:     by_value
      - .offset:         168
        .size:           4
        .value_kind:     by_value
      - .offset:         172
        .size:           4
        .value_kind:     by_value
      - .offset:         176
        .size:           4
        .value_kind:     by_value
      - .offset:         184
        .size:           4
        .value_kind:     hidden_block_count_x
      - .offset:         188
        .size:           4
        .value_kind:     hidden_block_count_y
      - .offset:         192
        .size:           4
        .value_kind:     hidden_block_count_z
      - .offset:         196
        .size:           2
        .value_kind:     hidden_group_size_x
      - .offset:         198
        .size:           2
        .value_kind:     hidden_group_size_y
      - .offset:         200
        .size:           2
        .value_kind:     hidden_group_size_z
      - .offset:         202
        .size:           2
        .value_kind:     hidden_remainder_x
      - .offset:         204
        .size:           2
        .value_kind:     hidden_remainder_y
      - .offset:         206
        .size:           2
        .value_kind:     hidden_remainder_z
      - .offset:         224
        .size:           8
        .value_kind:     hidden_global_offset_x
      - .offset:         232
        .size:           8
        .value_kind:     hidden_global_offset_y
      - .offset:         240
        .size:           8
        .value_kind:     hidden_global_offset_z
      - .offset:         248
        .size:           2
        .value_kind:     hidden_grid_dims
      - .offset:         304
        .size:           4
        .value_kind:     hidden_dynamic_lds_size
    .group_segment_fixed_size: 0
    .kernarg_segment_align: 8
    .kernarg_segment_size: 440
    .language:       OpenCL C
    .language_version:
      - 2
      - 0
    .max_flat_workgroup_size: 1024
    .name:           _ZN2at6native12_GLOBAL__N_144conv_depthwise3d_cuda_backward_weight_kernelIN3c108BFloat16EfLin1ELin1EEEvN5torch10headeronly6detail27GenericPackedTensorAccessorINS7_14TensorAccessorINS3_8ArrayRefIlEEKT_Lm4ENS6_16DefaultPtrTraitsEiEENS_6detail16IndexBoundsCheckILm5EiEESD_Lm5ESE_iEESJ_NS8_INS9_ISB_SC_Lm4ESE_iEESI_SC_Lm5ESE_iEEiiiiiiiii
    .private_segment_fixed_size: 0
    .sgpr_count:     50
    .sgpr_spill_count: 0
    .symbol:         _ZN2at6native12_GLOBAL__N_144conv_depthwise3d_cuda_backward_weight_kernelIN3c108BFloat16EfLin1ELin1EEEvN5torch10headeronly6detail27GenericPackedTensorAccessorINS7_14TensorAccessorINS3_8ArrayRefIlEEKT_Lm4ENS6_16DefaultPtrTraitsEiEENS_6detail16IndexBoundsCheckILm5EiEESD_Lm5ESE_iEESJ_NS8_INS9_ISB_SC_Lm4ESE_iEESI_SC_Lm5ESE_iEEiiiiiiiii.kd
    .uniform_work_group_size: 1
    .uses_dynamic_stack: false
    .vgpr_count:     20
    .vgpr_spill_count: 0
    .wavefront_size: 32
amdhsa.target:   amdgcn-amd-amdhsa--gfx1250
amdhsa.version:
  - 1
  - 2
...

	.end_amdgpu_metadata
